;; amdgpu-corpus repo=ROCm/rocFFT kind=compiled arch=gfx906 opt=O3
	.text
	.amdgcn_target "amdgcn-amd-amdhsa--gfx906"
	.amdhsa_code_object_version 6
	.protected	bluestein_single_fwd_len3240_dim1_half_op_CI_CI ; -- Begin function bluestein_single_fwd_len3240_dim1_half_op_CI_CI
	.globl	bluestein_single_fwd_len3240_dim1_half_op_CI_CI
	.p2align	8
	.type	bluestein_single_fwd_len3240_dim1_half_op_CI_CI,@function
bluestein_single_fwd_len3240_dim1_half_op_CI_CI: ; @bluestein_single_fwd_len3240_dim1_half_op_CI_CI
; %bb.0:
	s_load_dwordx4 s[16:19], s[4:5], 0x28
	v_mul_u32_u24_e32 v1, 0x25f, v0
	v_add_u32_sdwa v64, s6, v1 dst_sel:DWORD dst_unused:UNUSED_PAD src0_sel:DWORD src1_sel:WORD_1
	v_mov_b32_e32 v65, 0
	s_waitcnt lgkmcnt(0)
	v_cmp_gt_u64_e32 vcc, s[16:17], v[64:65]
	s_and_saveexec_b64 s[0:1], vcc
	s_cbranch_execz .LBB0_2
; %bb.1:
	s_load_dwordx4 s[8:11], s[4:5], 0x18
	s_load_dwordx4 s[0:3], s[4:5], 0x0
	s_movk_i32 s6, 0x6c
	v_mul_lo_u16_sdwa v1, v1, s6 dst_sel:DWORD dst_unused:UNUSED_PAD src0_sel:WORD_1 src1_sel:DWORD
	v_sub_u16_e32 v132, v0, v1
	s_waitcnt lgkmcnt(0)
	s_load_dwordx4 s[12:15], s[8:9], 0x0
	v_lshlrev_b32_e32 v136, 2, v132
	global_load_dword v135, v136, s[0:1]
	v_add_u32_e32 v143, 0x1200, v136
	v_add_u32_e32 v141, 0x2200, v136
	s_waitcnt lgkmcnt(0)
	v_mad_u64_u32 v[0:1], s[8:9], s14, v64, 0
	v_mad_u64_u32 v[2:3], s[8:9], s12, v132, 0
	s_mul_i32 s7, s13, 0x10e0
	s_mul_i32 s14, s12, 0x10e0
	v_mad_u64_u32 v[4:5], s[8:9], s15, v64, v[1:2]
	v_add_u32_e32 v134, 0x200, v136
	v_add_u32_e32 v130, 0x1400, v136
	v_mad_u64_u32 v[5:6], s[8:9], s13, v132, v[3:4]
	v_mov_b32_e32 v1, v4
	v_lshlrev_b64 v[0:1], 2, v[0:1]
	v_mov_b32_e32 v6, s19
	v_mov_b32_e32 v3, v5
	v_add_co_u32_e32 v4, vcc, s18, v0
	v_addc_co_u32_e32 v5, vcc, v6, v1, vcc
	v_lshlrev_b64 v[0:1], 2, v[2:3]
	s_mul_hi_u32 s8, s12, 0x10e0
	v_add_co_u32_e32 v0, vcc, v4, v0
	v_addc_co_u32_e32 v1, vcc, v5, v1, vcc
	global_load_dword v6, v[0:1], off
	s_add_i32 s7, s8, s7
	v_mov_b32_e32 v3, s7
	v_add_co_u32_e32 v2, vcc, s14, v0
	v_addc_co_u32_e32 v3, vcc, v1, v3, vcc
	global_load_dword v7, v[2:3], off
	v_mov_b32_e32 v4, s1
	v_add_co_u32_e32 v139, vcc, s0, v136
	v_addc_co_u32_e32 v140, vcc, 0, v4, vcc
	s_movk_i32 s8, 0x1000
	v_add_co_u32_e32 v0, vcc, s8, v139
	v_addc_co_u32_e32 v1, vcc, 0, v140, vcc
	global_load_dword v131, v[0:1], off offset:224
	v_mov_b32_e32 v5, s7
	v_add_co_u32_e32 v4, vcc, s14, v2
	v_addc_co_u32_e32 v5, vcc, v3, v5, vcc
	s_movk_i32 s8, 0x2000
	v_add_co_u32_e32 v2, vcc, s8, v139
	global_load_dword v8, v[4:5], off
	v_addc_co_u32_e32 v3, vcc, 0, v140, vcc
	global_load_dword v129, v[2:3], off offset:448
	s_mul_hi_u32 s9, s12, 0xffffdff0
	s_mul_i32 s8, s13, 0xffffdff0
	s_sub_i32 s13, s9, s12
	s_add_i32 s13, s13, s8
	s_mulk_i32 s12, 0xdff0
	v_mov_b32_e32 v9, s13
	v_add_co_u32_e32 v4, vcc, s12, v4
	v_addc_co_u32_e32 v5, vcc, v5, v9, vcc
	global_load_dword v9, v[4:5], off
	global_load_dword v128, v136, s[0:1] offset:432
	v_mov_b32_e32 v10, s7
	v_add_co_u32_e32 v4, vcc, s14, v4
	v_addc_co_u32_e32 v5, vcc, v5, v10, vcc
	global_load_dword v10, v[4:5], off
	global_load_dword v127, v[0:1], off offset:656
	v_mov_b32_e32 v11, s7
	v_add_co_u32_e32 v4, vcc, s14, v4
	v_addc_co_u32_e32 v5, vcc, v5, v11, vcc
	global_load_dword v11, v[4:5], off
	global_load_dword v125, v[2:3], off offset:880
	v_add_co_u32_e32 v4, vcc, s12, v4
	s_load_dwordx4 s[8:11], s[10:11], 0x0
	global_load_dword v122, v136, s[0:1] offset:864
	global_load_dword v117, v136, s[0:1] offset:1296
	;; [unrolled: 1-line block ×6, first 2 shown]
	global_load_dword v126, v[0:1], off offset:1088
	global_load_dword v120, v[0:1], off offset:1520
	;; [unrolled: 1-line block ×6, first 2 shown]
	v_mov_b32_e32 v15, s13
	v_mov_b32_e32 v16, s7
	;; [unrolled: 1-line block ×5, first 2 shown]
	v_add_u32_e32 v142, 0x2600, v136
	v_add_u32_e32 v121, 0x600, v136
	;; [unrolled: 1-line block ×16, first 2 shown]
	s_waitcnt vmcnt(22)
	v_lshrrev_b32_e32 v12, 16, v6
	v_mul_f16_sdwa v14, v135, v12 dst_sel:DWORD dst_unused:UNUSED_PAD src0_sel:WORD_1 src1_sel:DWORD
	v_mul_f16_sdwa v13, v135, v6 dst_sel:DWORD dst_unused:UNUSED_PAD src0_sel:WORD_1 src1_sel:DWORD
	v_fma_f16 v6, v135, v6, v14
	v_mov_b32_e32 v14, s13
	v_addc_co_u32_e32 v5, vcc, v5, v14, vcc
	global_load_dword v14, v[4:5], off
	v_fma_f16 v12, v135, v12, -v13
	s_waitcnt vmcnt(22)
	v_lshrrev_b32_e32 v13, 16, v7
	v_pack_b32_f16 v6, v6, v12
	v_add_co_u32_e32 v4, vcc, s14, v4
	s_movk_i32 s16, 0x21c
	s_movk_i32 s15, 0x3a79
	s_mov_b32 s17, 0xe38f
	s_load_dwordx2 s[4:5], s[4:5], 0x38
	s_waitcnt vmcnt(21)
	v_mul_f16_sdwa v12, v131, v13 dst_sel:DWORD dst_unused:UNUSED_PAD src0_sel:WORD_1 src1_sel:DWORD
	v_fma_f16 v12, v131, v7, v12
	v_mul_f16_sdwa v7, v131, v7 dst_sel:DWORD dst_unused:UNUSED_PAD src0_sel:WORD_1 src1_sel:DWORD
	v_fma_f16 v7, v131, v13, -v7
	v_pack_b32_f16 v7, v12, v7
	ds_write_b32 v136, v7 offset:4320
	global_load_dword v123, v[2:3], off offset:1312
	global_load_dword v118, v[2:3], off offset:1744
	;; [unrolled: 1-line block ×6, first 2 shown]
	v_mov_b32_e32 v13, s7
	s_waitcnt vmcnt(26)
	v_lshrrev_b32_e32 v7, 16, v8
	s_waitcnt vmcnt(25)
	v_mul_f16_sdwa v12, v129, v7 dst_sel:DWORD dst_unused:UNUSED_PAD src0_sel:WORD_1 src1_sel:DWORD
	v_fma_f16 v12, v129, v8, v12
	v_mul_f16_sdwa v8, v129, v8 dst_sel:DWORD dst_unused:UNUSED_PAD src0_sel:WORD_1 src1_sel:DWORD
	v_fma_f16 v7, v129, v7, -v8
	v_pack_b32_f16 v7, v12, v7
	ds_write_b32 v136, v7 offset:8640
	v_mov_b32_e32 v12, s13
	s_waitcnt vmcnt(24)
	v_lshrrev_b32_e32 v7, 16, v9
	s_waitcnt vmcnt(23)
	v_mul_f16_sdwa v8, v128, v7 dst_sel:DWORD dst_unused:UNUSED_PAD src0_sel:WORD_1 src1_sel:DWORD
	v_fma_f16 v8, v128, v9, v8
	v_mul_f16_sdwa v9, v128, v9 dst_sel:DWORD dst_unused:UNUSED_PAD src0_sel:WORD_1 src1_sel:DWORD
	v_fma_f16 v7, v128, v7, -v9
	v_pack_b32_f16 v7, v8, v7
	v_mov_b32_e32 v8, s7
	v_addc_co_u32_e32 v5, vcc, v5, v8, vcc
	global_load_dword v8, v[4:5], off
	ds_write2_b32 v136, v6, v7 offset1:108
	v_mov_b32_e32 v7, s7
	v_add_co_u32_e32 v4, vcc, s14, v4
	v_addc_co_u32_e32 v5, vcc, v5, v7, vcc
	s_waitcnt vmcnt(23)
	v_lshrrev_b32_e32 v6, 16, v10
	global_load_dword v7, v[4:5], off
	s_waitcnt vmcnt(23)
	v_mul_f16_sdwa v9, v127, v6 dst_sel:DWORD dst_unused:UNUSED_PAD src0_sel:WORD_1 src1_sel:DWORD
	v_fma_f16 v9, v127, v10, v9
	v_mul_f16_sdwa v10, v127, v10 dst_sel:DWORD dst_unused:UNUSED_PAD src0_sel:WORD_1 src1_sel:DWORD
	v_fma_f16 v6, v127, v6, -v10
	v_add_co_u32_e32 v4, vcc, s12, v4
	v_pack_b32_f16 v6, v9, v6
	s_waitcnt vmcnt(22)
	v_lshrrev_b32_e32 v9, 16, v11
	v_addc_co_u32_e32 v5, vcc, v5, v12, vcc
	s_waitcnt vmcnt(21)
	v_mul_f16_sdwa v10, v125, v9 dst_sel:DWORD dst_unused:UNUSED_PAD src0_sel:WORD_1 src1_sel:DWORD
	global_load_dword v12, v[4:5], off
	v_fma_f16 v10, v125, v11, v10
	v_mul_f16_sdwa v11, v125, v11 dst_sel:DWORD dst_unused:UNUSED_PAD src0_sel:WORD_1 src1_sel:DWORD
	v_fma_f16 v9, v125, v9, -v11
	v_mov_b32_e32 v11, s7
	v_add_co_u32_e32 v4, vcc, s14, v4
	v_addc_co_u32_e32 v5, vcc, v5, v11, vcc
	global_load_dword v11, v[4:5], off
	v_add_co_u32_e32 v4, vcc, s14, v4
	v_addc_co_u32_e32 v5, vcc, v5, v13, vcc
	global_load_dword v13, v[4:5], off
	;; [unrolled: 3-line block ×5, first 2 shown]
	v_add_co_u32_e32 v4, vcc, s12, v4
	v_pack_b32_f16 v9, v10, v9
	s_waitcnt vmcnt(14)
	v_lshrrev_b32_e32 v10, 16, v14
	v_addc_co_u32_e32 v5, vcc, v5, v19, vcc
	v_mul_f16_sdwa v18, v122, v10 dst_sel:DWORD dst_unused:UNUSED_PAD src0_sel:WORD_1 src1_sel:DWORD
	global_load_dword v19, v[4:5], off
	v_fma_f16 v18, v122, v14, v18
	v_mul_f16_sdwa v14, v122, v14 dst_sel:DWORD dst_unused:UNUSED_PAD src0_sel:WORD_1 src1_sel:DWORD
	v_fma_f16 v10, v122, v10, -v14
	v_mov_b32_e32 v14, s7
	v_add_co_u32_e32 v4, vcc, s14, v4
	v_addc_co_u32_e32 v5, vcc, v5, v14, vcc
	global_load_dword v14, v[4:5], off
	v_add_co_u32_e32 v4, vcc, s14, v4
	v_addc_co_u32_e32 v5, vcc, v5, v20, vcc
	global_load_dword v20, v[4:5], off
	v_pack_b32_f16 v10, v18, v10
	v_add_co_u32_e32 v4, vcc, s12, v4
	s_waitcnt vmcnt(10)
	v_lshrrev_b32_e32 v18, 16, v8
	v_mul_f16_sdwa v21, v126, v18 dst_sel:DWORD dst_unused:UNUSED_PAD src0_sel:WORD_1 src1_sel:DWORD
	v_fma_f16 v21, v126, v8, v21
	v_mul_f16_sdwa v8, v126, v8 dst_sel:DWORD dst_unused:UNUSED_PAD src0_sel:WORD_1 src1_sel:DWORD
	v_fma_f16 v8, v126, v18, -v8
	v_pack_b32_f16 v8, v21, v8
	ds_write2_b32 v143, v6, v8 offset0:36 offset1:144
	v_mov_b32_e32 v18, s13
	s_waitcnt vmcnt(9)
	v_lshrrev_b32_e32 v6, 16, v7
	v_mul_f16_sdwa v8, v123, v6 dst_sel:DWORD dst_unused:UNUSED_PAD src0_sel:WORD_1 src1_sel:DWORD
	v_fma_f16 v8, v123, v7, v8
	v_mul_f16_sdwa v7, v123, v7 dst_sel:DWORD dst_unused:UNUSED_PAD src0_sel:WORD_1 src1_sel:DWORD
	v_fma_f16 v6, v123, v6, -v7
	v_pack_b32_f16 v6, v8, v6
	ds_write2_b32 v141, v9, v6 offset0:92 offset1:200
	v_addc_co_u32_e32 v5, vcc, v5, v18, vcc
	global_load_dword v18, v[4:5], off
	v_add_co_u32_e32 v4, vcc, s14, v4
	s_waitcnt vmcnt(9)
	v_lshrrev_b32_e32 v6, 16, v12
	v_mul_f16_sdwa v7, v117, v6 dst_sel:DWORD dst_unused:UNUSED_PAD src0_sel:WORD_1 src1_sel:DWORD
	v_mul_f16_sdwa v8, v117, v12 dst_sel:DWORD dst_unused:UNUSED_PAD src0_sel:WORD_1 src1_sel:DWORD
	v_fma_f16 v7, v117, v12, v7
	v_fma_f16 v6, v117, v6, -v8
	v_pack_b32_f16 v6, v7, v6
	ds_write2_b32 v134, v10, v6 offset0:88 offset1:196
	v_mov_b32_e32 v12, s7
	s_waitcnt vmcnt(8)
	v_lshrrev_b32_e32 v6, 16, v11
	v_mul_f16_sdwa v7, v120, v6 dst_sel:DWORD dst_unused:UNUSED_PAD src0_sel:WORD_1 src1_sel:DWORD
	v_mul_f16_sdwa v8, v120, v11 dst_sel:DWORD dst_unused:UNUSED_PAD src0_sel:WORD_1 src1_sel:DWORD
	v_fma_f16 v7, v120, v11, v7
	v_fma_f16 v6, v120, v6, -v8
	v_pack_b32_f16 v6, v7, v6
	s_waitcnt vmcnt(7)
	v_lshrrev_b32_e32 v7, 16, v13
	v_mul_f16_sdwa v8, v118, v7 dst_sel:DWORD dst_unused:UNUSED_PAD src0_sel:WORD_1 src1_sel:DWORD
	v_mul_f16_sdwa v9, v118, v13 dst_sel:DWORD dst_unused:UNUSED_PAD src0_sel:WORD_1 src1_sel:DWORD
	v_fma_f16 v8, v118, v13, v8
	v_fma_f16 v7, v118, v7, -v9
	v_pack_b32_f16 v7, v8, v7
	;; [unrolled: 7-line block ×4, first 2 shown]
	ds_write2_b32 v130, v6, v9 offset0:124 offset1:232
	s_waitcnt vmcnt(4)
	v_lshrrev_b32_e32 v6, 16, v17
	v_mul_f16_sdwa v9, v113, v6 dst_sel:DWORD dst_unused:UNUSED_PAD src0_sel:WORD_1 src1_sel:DWORD
	v_mul_f16_sdwa v10, v113, v17 dst_sel:DWORD dst_unused:UNUSED_PAD src0_sel:WORD_1 src1_sel:DWORD
	v_fma_f16 v9, v113, v17, v9
	v_fma_f16 v6, v113, v6, -v10
	v_pack_b32_f16 v6, v9, v6
	ds_write2_b32 v142, v7, v6 offset0:52 offset1:160
	s_waitcnt vmcnt(3)
	v_lshrrev_b32_e32 v6, 16, v19
	v_mul_f16_sdwa v7, v110, v6 dst_sel:DWORD dst_unused:UNUSED_PAD src0_sel:WORD_1 src1_sel:DWORD
	v_mul_f16_sdwa v9, v110, v19 dst_sel:DWORD dst_unused:UNUSED_PAD src0_sel:WORD_1 src1_sel:DWORD
	v_fma_f16 v7, v110, v19, v7
	v_fma_f16 v6, v110, v6, -v9
	v_pack_b32_f16 v6, v7, v6
	ds_write2_b32 v121, v8, v6 offset0:48 offset1:156
	s_waitcnt vmcnt(2)
	v_lshrrev_b32_e32 v6, 16, v14
	v_mul_f16_sdwa v7, v109, v6 dst_sel:DWORD dst_unused:UNUSED_PAD src0_sel:WORD_1 src1_sel:DWORD
	v_mul_f16_sdwa v8, v109, v14 dst_sel:DWORD dst_unused:UNUSED_PAD src0_sel:WORD_1 src1_sel:DWORD
	v_mov_b32_e32 v10, s7
	v_fma_f16 v7, v109, v14, v7
	v_fma_f16 v6, v109, v6, -v8
	v_addc_co_u32_e32 v5, vcc, v5, v10, vcc
	v_pack_b32_f16 v6, v7, v6
	s_waitcnt vmcnt(1)
	v_lshrrev_b32_e32 v7, 16, v20
	global_load_dword v10, v[4:5], off
	v_mul_f16_sdwa v8, v108, v7 dst_sel:DWORD dst_unused:UNUSED_PAD src0_sel:WORD_1 src1_sel:DWORD
	v_mul_f16_sdwa v9, v108, v20 dst_sel:DWORD dst_unused:UNUSED_PAD src0_sel:WORD_1 src1_sel:DWORD
	v_fma_f16 v8, v108, v20, v8
	v_fma_f16 v7, v108, v7, -v9
	v_pack_b32_f16 v7, v8, v7
	v_mov_b32_e32 v8, s7
	v_add_co_u32_e32 v4, vcc, s14, v4
	v_addc_co_u32_e32 v5, vcc, v5, v8, vcc
	global_load_dword v8, v[4:5], off
	v_mov_b32_e32 v11, s13
	v_add_co_u32_e32 v4, vcc, s12, v4
	v_addc_co_u32_e32 v5, vcc, v5, v11, vcc
	global_load_dword v11, v[4:5], off
	v_add_co_u32_e32 v4, vcc, s14, v4
	v_addc_co_u32_e32 v5, vcc, v5, v12, vcc
	global_load_dword v12, v[4:5], off
	v_mov_b32_e32 v13, s7
	v_add_co_u32_e32 v4, vcc, s14, v4
	v_addc_co_u32_e32 v5, vcc, v5, v13, vcc
	global_load_dword v13, v[4:5], off
	global_load_dword v101, v[2:3], off offset:3472
	v_mov_b32_e32 v14, s13
	v_add_co_u32_e32 v4, vcc, s12, v4
	v_addc_co_u32_e32 v5, vcc, v5, v14, vcc
	global_load_dword v14, v[4:5], off
	global_load_dword v99, v136, s[0:1] offset:3456
	v_mov_b32_e32 v15, s7
	v_add_co_u32_e32 v4, vcc, s14, v4
	v_addc_co_u32_e32 v5, vcc, v5, v15, vcc
	global_load_dword v15, v[4:5], off
	global_load_dword v97, v[0:1], off offset:3680
	v_mov_b32_e32 v1, s7
	v_add_co_u32_e32 v0, vcc, s14, v4
	v_addc_co_u32_e32 v1, vcc, v5, v1, vcc
	global_load_dword v4, v[0:1], off
	global_load_dword v96, v[2:3], off offset:3904
	v_mov_b32_e32 v2, s13
	v_add_co_u32_e32 v0, vcc, s12, v0
	v_addc_co_u32_e32 v1, vcc, v1, v2, vcc
	global_load_dword v2, v[0:1], off
	global_load_dword v95, v136, s[0:1] offset:3888
	v_mov_b32_e32 v3, s7
	v_add_co_u32_e32 v0, vcc, s14, v0
	v_addc_co_u32_e32 v1, vcc, v1, v3, vcc
	global_load_dword v3, v[0:1], off
	v_mov_b32_e32 v5, s7
	v_add_co_u32_e32 v0, vcc, s14, v0
	v_addc_co_u32_e32 v1, vcc, v1, v5, vcc
	s_movk_i32 s0, 0x3000
	v_add_co_u32_e32 v85, vcc, s0, v139
	global_load_dword v0, v[0:1], off
	v_addc_co_u32_e32 v86, vcc, 0, v140, vcc
	global_load_dword v94, v[85:86], off offset:240
	s_waitcnt vmcnt(17)
	v_lshrrev_b32_e32 v9, 16, v18
	v_mul_f16_sdwa v1, v107, v9 dst_sel:DWORD dst_unused:UNUSED_PAD src0_sel:WORD_1 src1_sel:DWORD
	v_mul_f16_sdwa v5, v107, v18 dst_sel:DWORD dst_unused:UNUSED_PAD src0_sel:WORD_1 src1_sel:DWORD
	v_fma_f16 v1, v107, v18, v1
	v_fma_f16 v5, v107, v9, -v5
	v_pack_b32_f16 v1, v1, v5
	s_movk_i32 s0, 0x3aee
	s_mov_b32 s1, 0xbaee
	s_movk_i32 s7, 0xab
	s_waitcnt vmcnt(16)
	v_lshrrev_b32_e32 v5, 16, v10
	v_mul_f16_sdwa v9, v105, v5 dst_sel:DWORD dst_unused:UNUSED_PAD src0_sel:WORD_1 src1_sel:DWORD
	v_fma_f16 v9, v105, v10, v9
	v_mul_f16_sdwa v10, v105, v10 dst_sel:DWORD dst_unused:UNUSED_PAD src0_sel:WORD_1 src1_sel:DWORD
	v_fma_f16 v5, v105, v5, -v10
	v_pack_b32_f16 v5, v9, v5
	ds_write2_b32 v144, v6, v5 offset0:84 offset1:192
	s_mov_b32 s13, 0xbb9c
	s_movk_i32 s12, 0x3b9c
	s_mov_b32 s14, 0xb8b4
	s_waitcnt vmcnt(15)
	v_lshrrev_b32_e32 v5, 16, v8
	v_mul_f16_sdwa v6, v103, v5 dst_sel:DWORD dst_unused:UNUSED_PAD src0_sel:WORD_1 src1_sel:DWORD
	v_fma_f16 v6, v103, v8, v6
	v_mul_f16_sdwa v8, v103, v8 dst_sel:DWORD dst_unused:UNUSED_PAD src0_sel:WORD_1 src1_sel:DWORD
	v_fma_f16 v5, v103, v5, -v8
	v_pack_b32_f16 v5, v6, v5
	ds_write2_b32 v119, v7, v5 offset0:140 offset1:248
	s_waitcnt vmcnt(14)
	v_lshrrev_b32_e32 v5, 16, v11
	v_mul_f16_sdwa v6, v100, v5 dst_sel:DWORD dst_unused:UNUSED_PAD src0_sel:WORD_1 src1_sel:DWORD
	v_mul_f16_sdwa v7, v100, v11 dst_sel:DWORD dst_unused:UNUSED_PAD src0_sel:WORD_1 src1_sel:DWORD
	v_fma_f16 v6, v100, v11, v6
	v_fma_f16 v5, v100, v5, -v7
	v_pack_b32_f16 v5, v6, v5
	ds_write2_b32 v111, v1, v5 offset0:136 offset1:244
	s_waitcnt vmcnt(13)
	v_lshrrev_b32_e32 v1, 16, v12
	v_mul_f16_sdwa v5, v98, v1 dst_sel:DWORD dst_unused:UNUSED_PAD src0_sel:WORD_1 src1_sel:DWORD
	v_mul_f16_sdwa v6, v98, v12 dst_sel:DWORD dst_unused:UNUSED_PAD src0_sel:WORD_1 src1_sel:DWORD
	v_fma_f16 v5, v98, v12, v5
	v_fma_f16 v1, v98, v1, -v6
	v_pack_b32_f16 v1, v5, v1
	s_waitcnt vmcnt(12)
	v_lshrrev_b32_e32 v5, 16, v13
	s_waitcnt vmcnt(11)
	v_mul_f16_sdwa v6, v101, v5 dst_sel:DWORD dst_unused:UNUSED_PAD src0_sel:WORD_1 src1_sel:DWORD
	v_mul_f16_sdwa v7, v101, v13 dst_sel:DWORD dst_unused:UNUSED_PAD src0_sel:WORD_1 src1_sel:DWORD
	v_fma_f16 v6, v101, v13, v6
	v_fma_f16 v5, v101, v5, -v7
	v_pack_b32_f16 v5, v6, v5
	s_waitcnt vmcnt(10)
	v_lshrrev_b32_e32 v6, 16, v14
	s_waitcnt vmcnt(9)
	;; [unrolled: 8-line block ×3, first 2 shown]
	v_mul_f16_sdwa v8, v97, v7 dst_sel:DWORD dst_unused:UNUSED_PAD src0_sel:WORD_1 src1_sel:DWORD
	v_mul_f16_sdwa v9, v97, v15 dst_sel:DWORD dst_unused:UNUSED_PAD src0_sel:WORD_1 src1_sel:DWORD
	v_fma_f16 v8, v97, v15, v8
	v_fma_f16 v7, v97, v7, -v9
	v_pack_b32_f16 v7, v8, v7
	ds_write2_b32 v146, v1, v7 offset0:44 offset1:152
	s_waitcnt vmcnt(6)
	v_lshrrev_b32_e32 v1, 16, v4
	s_waitcnt vmcnt(5)
	v_mul_f16_sdwa v7, v96, v1 dst_sel:DWORD dst_unused:UNUSED_PAD src0_sel:WORD_1 src1_sel:DWORD
	v_fma_f16 v7, v96, v4, v7
	v_mul_f16_sdwa v4, v96, v4 dst_sel:DWORD dst_unused:UNUSED_PAD src0_sel:WORD_1 src1_sel:DWORD
	v_fma_f16 v1, v96, v1, -v4
	v_pack_b32_f16 v1, v7, v1
	ds_write2_b32 v145, v5, v1 offset0:100 offset1:208
	s_waitcnt vmcnt(4)
	v_lshrrev_b32_e32 v1, 16, v2
	s_waitcnt vmcnt(3)
	v_mul_f16_sdwa v4, v95, v1 dst_sel:DWORD dst_unused:UNUSED_PAD src0_sel:WORD_1 src1_sel:DWORD
	v_fma_f16 v4, v95, v2, v4
	v_mul_f16_sdwa v2, v95, v2 dst_sel:DWORD dst_unused:UNUSED_PAD src0_sel:WORD_1 src1_sel:DWORD
	v_fma_f16 v1, v95, v1, -v2
	v_pack_b32_f16 v1, v4, v1
	ds_write2_b32 v102, v6, v1 offset0:96 offset1:204
	s_waitcnt vmcnt(2)
	v_lshrrev_b32_e32 v1, 16, v3
	v_mul_f16_sdwa v2, v93, v1 dst_sel:DWORD dst_unused:UNUSED_PAD src0_sel:WORD_1 src1_sel:DWORD
	v_fma_f16 v2, v93, v3, v2
	v_mul_f16_sdwa v3, v93, v3 dst_sel:DWORD dst_unused:UNUSED_PAD src0_sel:WORD_1 src1_sel:DWORD
	v_fma_f16 v1, v93, v1, -v3
	v_pack_b32_f16 v1, v2, v1
	ds_write_b32 v136, v1 offset:8208
	s_waitcnt vmcnt(1)
	v_lshrrev_b32_e32 v1, 16, v0
	s_waitcnt vmcnt(0)
	v_mul_f16_sdwa v2, v94, v1 dst_sel:DWORD dst_unused:UNUSED_PAD src0_sel:WORD_1 src1_sel:DWORD
	v_fma_f16 v2, v94, v0, v2
	v_mul_f16_sdwa v0, v94, v0 dst_sel:DWORD dst_unused:UNUSED_PAD src0_sel:WORD_1 src1_sel:DWORD
	v_fma_f16 v0, v94, v1, -v0
	v_pack_b32_f16 v0, v2, v0
	ds_write_b32 v136, v0 offset:12528
	s_waitcnt lgkmcnt(0)
	s_barrier
	ds_read2_b32 v[0:1], v136 offset1:108
	ds_read2_b32 v[2:3], v134 offset0:88 offset1:196
	ds_read2_b32 v[4:5], v138 offset0:56 offset1:164
	;; [unrolled: 1-line block ×5, first 2 shown]
	s_waitcnt lgkmcnt(5)
	v_lshrrev_b32_e32 v12, 16, v0
	s_waitcnt lgkmcnt(3)
	v_add_f16_e32 v16, v0, v4
	s_waitcnt lgkmcnt(2)
	v_add_f16_e32 v17, v4, v6
	v_fma_f16 v17, v17, -0.5, v0
	v_add_f16_sdwa v0, v12, v4 dst_sel:DWORD dst_unused:UNUSED_PAD src0_sel:DWORD src1_sel:WORD_1
	v_add_f16_sdwa v19, v0, v6 dst_sel:DWORD dst_unused:UNUSED_PAD src0_sel:DWORD src1_sel:WORD_1
	v_add_f16_e32 v0, v1, v5
	v_lshrrev_b32_e32 v13, 16, v1
	v_add_f16_e32 v22, v0, v7
	v_add_f16_e32 v0, v5, v7
	v_fma_f16 v23, v0, -0.5, v1
	v_add_f16_sdwa v0, v13, v5 dst_sel:DWORD dst_unused:UNUSED_PAD src0_sel:DWORD src1_sel:WORD_1
	s_waitcnt lgkmcnt(0)
	v_add_f16_e32 v1, v8, v10
	v_add_f16_sdwa v25, v0, v7 dst_sel:DWORD dst_unused:UNUSED_PAD src0_sel:DWORD src1_sel:WORD_1
	v_add_f16_e32 v0, v2, v8
	v_fma_f16 v28, v1, -0.5, v2
	v_add_f16_e32 v1, v9, v11
	v_lshrrev_b32_e32 v14, 16, v2
	v_lshrrev_b32_e32 v15, 16, v3
	v_sub_f16_sdwa v18, v4, v6 dst_sel:DWORD dst_unused:UNUSED_PAD src0_sel:WORD_1 src1_sel:WORD_1
	v_add_f16_sdwa v20, v4, v6 dst_sel:DWORD dst_unused:UNUSED_PAD src0_sel:WORD_1 src1_sel:WORD_1
	v_sub_f16_e32 v21, v4, v6
	v_sub_f16_sdwa v24, v5, v7 dst_sel:DWORD dst_unused:UNUSED_PAD src0_sel:WORD_1 src1_sel:WORD_1
	v_add_f16_sdwa v26, v5, v7 dst_sel:DWORD dst_unused:UNUSED_PAD src0_sel:WORD_1 src1_sel:WORD_1
	v_sub_f16_e32 v27, v5, v7
	v_fma_f16 v30, v1, -0.5, v3
	v_add_f16_e32 v7, v3, v9
	v_add_f16_e32 v35, v0, v10
	ds_read2_b32 v[0:1], v124 offset0:104 offset1:212
	ds_read2_b32 v[2:3], v119 offset0:32 offset1:140
	;; [unrolled: 1-line block ×3, first 2 shown]
	v_add_f16_e32 v16, v16, v6
	v_add_f16_sdwa v6, v14, v8 dst_sel:DWORD dst_unused:UNUSED_PAD src0_sel:DWORD src1_sel:WORD_1
	v_sub_f16_sdwa v29, v8, v10 dst_sel:DWORD dst_unused:UNUSED_PAD src0_sel:WORD_1 src1_sel:WORD_1
	v_add_f16_sdwa v32, v8, v10 dst_sel:DWORD dst_unused:UNUSED_PAD src0_sel:WORD_1 src1_sel:WORD_1
	v_sub_f16_e32 v8, v8, v10
	v_add_f16_sdwa v10, v6, v10 dst_sel:DWORD dst_unused:UNUSED_PAD src0_sel:DWORD src1_sel:WORD_1
	s_waitcnt lgkmcnt(1)
	v_add_f16_e32 v6, v0, v2
	v_add_f16_sdwa v31, v15, v9 dst_sel:DWORD dst_unused:UNUSED_PAD src0_sel:DWORD src1_sel:WORD_1
	s_waitcnt lgkmcnt(0)
	v_fma_f16 v39, v6, -0.5, v4
	v_add_f16_e32 v6, v1, v3
	v_lshrrev_b32_e32 v38, 16, v4
	v_lshrrev_b32_e32 v41, 16, v5
	v_add_f16_e32 v4, v4, v0
	v_sub_f16_sdwa v33, v9, v11 dst_sel:DWORD dst_unused:UNUSED_PAD src0_sel:WORD_1 src1_sel:WORD_1
	v_add_f16_sdwa v34, v9, v11 dst_sel:DWORD dst_unused:UNUSED_PAD src0_sel:WORD_1 src1_sel:WORD_1
	v_sub_f16_e32 v9, v9, v11
	v_add_f16_e32 v37, v7, v11
	v_add_f16_sdwa v11, v31, v11 dst_sel:DWORD dst_unused:UNUSED_PAD src0_sel:DWORD src1_sel:WORD_1
	v_fma_f16 v40, v6, -0.5, v5
	v_add_f16_e32 v31, v5, v1
	v_sub_f16_sdwa v42, v0, v2 dst_sel:DWORD dst_unused:UNUSED_PAD src0_sel:WORD_1 src1_sel:WORD_1
	v_add_f16_sdwa v36, v38, v0 dst_sel:DWORD dst_unused:UNUSED_PAD src0_sel:DWORD src1_sel:WORD_1
	v_add_f16_sdwa v43, v0, v2 dst_sel:DWORD dst_unused:UNUSED_PAD src0_sel:WORD_1 src1_sel:WORD_1
	v_sub_f16_e32 v44, v0, v2
	v_sub_f16_sdwa v45, v1, v3 dst_sel:DWORD dst_unused:UNUSED_PAD src0_sel:WORD_1 src1_sel:WORD_1
	v_add_f16_sdwa v46, v41, v1 dst_sel:DWORD dst_unused:UNUSED_PAD src0_sel:DWORD src1_sel:WORD_1
	v_add_f16_sdwa v47, v1, v3 dst_sel:DWORD dst_unused:UNUSED_PAD src0_sel:WORD_1 src1_sel:WORD_1
	v_sub_f16_e32 v48, v1, v3
	v_add_f16_e32 v49, v4, v2
	ds_read2_b32 v[0:1], v115 offset0:64 offset1:172
	ds_read2_b32 v[4:5], v112 offset0:120 offset1:228
	;; [unrolled: 1-line block ×3, first 2 shown]
	v_add_f16_sdwa v50, v36, v2 dst_sel:DWORD dst_unused:UNUSED_PAD src0_sel:DWORD src1_sel:WORD_1
	v_add_f16_e32 v51, v31, v3
	v_add_f16_sdwa v46, v46, v3 dst_sel:DWORD dst_unused:UNUSED_PAD src0_sel:DWORD src1_sel:WORD_1
	s_waitcnt lgkmcnt(1)
	v_add_f16_e32 v2, v0, v4
	s_waitcnt lgkmcnt(0)
	v_fma_f16 v52, v2, -0.5, v6
	v_add_f16_e32 v2, v1, v5
	v_fma_f16 v53, v2, -0.5, v7
	v_lshrrev_b32_e32 v54, 16, v6
	v_lshrrev_b32_e32 v55, 16, v7
	v_add_f16_e32 v2, v6, v0
	v_add_f16_e32 v31, v7, v1
	v_sub_f16_sdwa v56, v0, v4 dst_sel:DWORD dst_unused:UNUSED_PAD src0_sel:WORD_1 src1_sel:WORD_1
	v_add_f16_sdwa v36, v54, v0 dst_sel:DWORD dst_unused:UNUSED_PAD src0_sel:DWORD src1_sel:WORD_1
	v_add_f16_sdwa v57, v0, v4 dst_sel:DWORD dst_unused:UNUSED_PAD src0_sel:WORD_1 src1_sel:WORD_1
	v_sub_f16_e32 v58, v0, v4
	v_sub_f16_sdwa v59, v1, v5 dst_sel:DWORD dst_unused:UNUSED_PAD src0_sel:WORD_1 src1_sel:WORD_1
	v_add_f16_sdwa v60, v55, v1 dst_sel:DWORD dst_unused:UNUSED_PAD src0_sel:DWORD src1_sel:WORD_1
	v_add_f16_sdwa v61, v1, v5 dst_sel:DWORD dst_unused:UNUSED_PAD src0_sel:WORD_1 src1_sel:WORD_1
	v_sub_f16_e32 v62, v1, v5
	v_add_f16_e32 v63, v2, v4
	ds_read2_b32 v[0:1], v106 offset0:24 offset1:132
	ds_read2_b32 v[2:3], v104 offset0:80 offset1:188
	;; [unrolled: 1-line block ×3, first 2 shown]
	v_add_f16_e32 v65, v31, v5
	v_add_f16_sdwa v5, v60, v5 dst_sel:DWORD dst_unused:UNUSED_PAD src0_sel:DWORD src1_sel:WORD_1
	v_fma_f16 v12, v20, -0.5, v12
	s_waitcnt lgkmcnt(1)
	v_add_f16_e32 v31, v0, v2
	s_waitcnt lgkmcnt(0)
	v_fma_f16 v60, v31, -0.5, v6
	v_add_f16_e32 v31, v1, v3
	v_lshrrev_b32_e32 v67, 16, v6
	v_fma_f16 v66, v31, -0.5, v7
	v_add_f16_e32 v6, v6, v0
	v_add_f16_sdwa v31, v67, v0 dst_sel:DWORD dst_unused:UNUSED_PAD src0_sel:DWORD src1_sel:WORD_1
	v_sub_f16_sdwa v69, v0, v2 dst_sel:DWORD dst_unused:UNUSED_PAD src0_sel:WORD_1 src1_sel:WORD_1
	v_add_f16_sdwa v70, v0, v2 dst_sel:DWORD dst_unused:UNUSED_PAD src0_sel:WORD_1 src1_sel:WORD_1
	v_sub_f16_e32 v0, v0, v2
	v_add_f16_e32 v6, v6, v2
	v_add_f16_sdwa v2, v31, v2 dst_sel:DWORD dst_unused:UNUSED_PAD src0_sel:DWORD src1_sel:WORD_1
	v_fma_f16 v20, v18, s0, v17
	v_fma_f16 v31, v21, s1, v12
	v_pack_b32_f16 v16, v16, v19
	v_mul_lo_u16_e32 v19, 3, v132
	v_pack_b32_f16 v20, v20, v31
	v_lshlrev_b32_e32 v147, 2, v19
	s_barrier
	ds_write2_b32 v147, v16, v20 offset1:1
	v_fma_f16 v16, v18, s1, v17
	v_fma_f16 v12, v21, s0, v12
	v_fma_f16 v13, v26, -0.5, v13
	v_pack_b32_f16 v12, v16, v12
	v_add_co_u32_e32 v31, vcc, s6, v132
	ds_write_b32 v147, v12 offset:8
	v_fma_f16 v12, v24, s0, v23
	v_fma_f16 v16, v27, s1, v13
	v_mul_u32_u24_e32 v17, 3, v31
	v_pack_b32_f16 v12, v12, v16
	v_pack_b32_f16 v16, v22, v25
	v_lshlrev_b32_e32 v148, 2, v17
	v_lshrrev_b32_e32 v68, 16, v7
	ds_write2_b32 v148, v16, v12 offset1:1
	v_fma_f16 v12, v24, s1, v23
	v_fma_f16 v13, v27, s0, v13
	v_add_f16_sdwa v4, v36, v4 dst_sel:DWORD dst_unused:UNUSED_PAD src0_sel:DWORD src1_sel:WORD_1
	v_add_f16_e32 v7, v7, v1
	v_add_f16_sdwa v36, v68, v1 dst_sel:DWORD dst_unused:UNUSED_PAD src0_sel:DWORD src1_sel:WORD_1
	v_fma_f16 v14, v32, -0.5, v14
	v_pack_b32_f16 v12, v12, v13
	s_movk_i32 s6, 0xd8
	v_sub_f16_sdwa v71, v1, v3 dst_sel:DWORD dst_unused:UNUSED_PAD src0_sel:WORD_1 src1_sel:WORD_1
	v_add_f16_sdwa v72, v1, v3 dst_sel:DWORD dst_unused:UNUSED_PAD src0_sel:WORD_1 src1_sel:WORD_1
	v_sub_f16_e32 v1, v1, v3
	v_add_f16_e32 v7, v7, v3
	v_add_f16_sdwa v3, v36, v3 dst_sel:DWORD dst_unused:UNUSED_PAD src0_sel:DWORD src1_sel:WORD_1
	ds_write_b32 v148, v12 offset:8
	v_fma_f16 v12, v29, s0, v28
	v_fma_f16 v13, v8, s1, v14
	v_add_co_u32_e32 v36, vcc, s6, v132
	v_pack_b32_f16 v12, v12, v13
	v_mul_u32_u24_e32 v13, 3, v36
	v_pack_b32_f16 v10, v35, v10
	v_lshlrev_b32_e32 v149, 2, v13
	ds_write2_b32 v149, v10, v12 offset1:1
	v_fma_f16 v10, v29, s1, v28
	v_fma_f16 v8, v8, s0, v14
	v_fma_f16 v12, v34, -0.5, v15
	v_pack_b32_f16 v8, v10, v8
	ds_write_b32 v149, v8 offset:8
	v_fma_f16 v8, v33, s0, v30
	v_fma_f16 v10, v9, s1, v12
	s_movk_i32 s6, 0x144
	v_pack_b32_f16 v8, v8, v10
	v_pack_b32_f16 v10, v37, v11
	v_add_co_u32_e32 v37, vcc, s6, v132
	v_mul_u32_u24_e32 v11, 3, v37
	v_lshlrev_b32_e32 v150, 2, v11
	ds_write2_b32 v150, v10, v8 offset1:1
	v_fma_f16 v8, v33, s1, v30
	v_fma_f16 v9, v9, s0, v12
	s_movk_i32 s6, 0x1b0
	v_fma_f16 v10, v43, -0.5, v38
	v_pack_b32_f16 v8, v8, v9
	v_add_co_u32_e32 v38, vcc, s6, v132
	ds_write_b32 v150, v8 offset:8
	v_fma_f16 v8, v42, s0, v39
	v_fma_f16 v9, v44, s1, v10
	v_mul_u32_u24_e32 v11, 3, v38
	v_pack_b32_f16 v8, v8, v9
	v_pack_b32_f16 v9, v49, v50
	v_lshlrev_b32_e32 v151, 2, v11
	ds_write2_b32 v151, v9, v8 offset1:1
	v_fma_f16 v8, v42, s1, v39
	v_fma_f16 v9, v44, s0, v10
	v_fma_f16 v10, v47, -0.5, v41
	v_pack_b32_f16 v8, v8, v9
	v_add_co_u32_e32 v11, vcc, s16, v132
	ds_write_b32 v151, v8 offset:8
	v_fma_f16 v8, v45, s0, v40
	v_fma_f16 v9, v48, s1, v10
	v_mul_u32_u24_e32 v12, 3, v11
	v_pack_b32_f16 v8, v8, v9
	v_pack_b32_f16 v9, v51, v46
	v_lshlrev_b32_e32 v152, 2, v12
	ds_write2_b32 v152, v9, v8 offset1:1
	v_fma_f16 v8, v45, s1, v40
	v_fma_f16 v9, v48, s0, v10
	v_fma_f16 v10, v57, -0.5, v54
	v_pack_b32_f16 v8, v8, v9
	ds_write_b32 v152, v8 offset:8
	v_fma_f16 v8, v56, s0, v52
	v_fma_f16 v9, v58, s1, v10
	s_movk_i32 s6, 0x288
	v_pack_b32_f16 v8, v8, v9
	v_add_co_u32_e32 v9, vcc, s6, v132
	v_mul_u32_u24_e32 v12, 3, v9
	v_pack_b32_f16 v4, v63, v4
	v_lshlrev_b32_e32 v153, 2, v12
	ds_write2_b32 v153, v4, v8 offset1:1
	v_fma_f16 v4, v56, s1, v52
	v_fma_f16 v8, v58, s0, v10
	v_fma_f16 v10, v61, -0.5, v55
	v_pack_b32_f16 v4, v4, v8
	ds_write_b32 v153, v4 offset:8
	v_fma_f16 v4, v59, s0, v53
	v_fma_f16 v8, v62, s1, v10
	s_movk_i32 s6, 0x2f4
	v_pack_b32_f16 v4, v4, v8
	v_add_co_u32_e32 v8, vcc, s6, v132
	v_mul_u32_u24_e32 v12, 3, v8
	v_pack_b32_f16 v5, v65, v5
	v_lshlrev_b32_e32 v154, 2, v12
	ds_write2_b32 v154, v5, v4 offset1:1
	v_fma_f16 v4, v59, s1, v53
	v_fma_f16 v5, v62, s0, v10
	v_fma_f16 v10, v70, -0.5, v67
	v_pack_b32_f16 v4, v4, v5
	s_movk_i32 s6, 0x360
	ds_write_b32 v154, v4 offset:8
	v_fma_f16 v4, v69, s0, v60
	v_fma_f16 v5, v0, s1, v10
	v_pack_b32_f16 v2, v6, v2
	v_add_co_u32_e32 v6, vcc, s6, v132
	v_pack_b32_f16 v4, v4, v5
	v_mul_u32_u24_e32 v5, 3, v6
	v_lshlrev_b32_e32 v155, 2, v5
	ds_write2_b32 v155, v2, v4 offset1:1
	v_fma_f16 v2, v69, s1, v60
	v_fma_f16 v0, v0, s0, v10
	v_fma_f16 v4, v72, -0.5, v68
	v_pack_b32_f16 v0, v2, v0
	ds_write_b32 v155, v0 offset:8
	v_fma_f16 v0, v71, s0, v66
	v_fma_f16 v2, v1, s1, v4
	s_movk_i32 s6, 0x3cc
	v_pack_b32_f16 v0, v0, v2
	v_pack_b32_f16 v2, v7, v3
	v_add_co_u32_e32 v7, vcc, s6, v132
	v_mul_u32_u24_e32 v3, 3, v7
	v_lshlrev_b32_e32 v156, 2, v3
	ds_write2_b32 v156, v2, v0 offset1:1
	v_fma_f16 v0, v71, s1, v66
	v_fma_f16 v1, v1, s0, v4
	v_pack_b32_f16 v0, v0, v1
	ds_write_b32 v156, v0 offset:8
	v_mul_lo_u16_sdwa v0, v132, s7 dst_sel:DWORD dst_unused:UNUSED_PAD src0_sel:BYTE_0 src1_sel:DWORD
	v_lshrrev_b16_e32 v12, 9, v0
	v_mul_lo_u16_e32 v0, 3, v12
	v_sub_u16_e32 v0, v132, v0
	v_and_b32_e32 v13, 0xff, v0
	v_lshlrev_b32_e32 v0, 3, v13
	s_waitcnt lgkmcnt(0)
	s_barrier
	global_load_dwordx2 v[65:66], v0, s[2:3]
	s_mov_b32 s6, 0xaaab
	v_mul_u32_u24_sdwa v0, v11, s6 dst_sel:DWORD dst_unused:UNUSED_PAD src0_sel:WORD_0 src1_sel:DWORD
	v_lshrrev_b32_e32 v30, 17, v0
	v_mul_lo_u16_e32 v0, 3, v30
	v_sub_u16_e32 v41, v11, v0
	v_mul_u32_u24_sdwa v0, v9, s6 dst_sel:DWORD dst_unused:UNUSED_PAD src0_sel:WORD_0 src1_sel:DWORD
	v_lshrrev_b32_e32 v42, 17, v0
	v_mul_lo_u16_e32 v0, 3, v42
	v_sub_u16_e32 v43, v9, v0
	;; [unrolled: 4-line block ×4, first 2 shown]
	v_mul_lo_u16_sdwa v6, v31, s7 dst_sel:DWORD dst_unused:UNUSED_PAD src0_sel:BYTE_0 src1_sel:DWORD
	v_lshrrev_b16_e32 v44, 9, v6
	v_mul_lo_u16_e32 v6, 3, v44
	v_sub_u16_e32 v6, v31, v6
	v_and_b32_e32 v45, 0xff, v6
	v_mul_u32_u24_sdwa v6, v36, s6 dst_sel:DWORD dst_unused:UNUSED_PAD src0_sel:WORD_0 src1_sel:DWORD
	v_lshrrev_b32_e32 v46, 17, v6
	v_mul_lo_u16_e32 v6, 3, v46
	v_sub_u16_e32 v47, v36, v6
	v_lshlrev_b32_e32 v6, 3, v45
	global_load_dwordx2 v[69:70], v6, s[2:3]
	v_lshlrev_b16_e32 v6, 1, v47
	v_lshlrev_b32_e32 v10, 2, v6
	v_mul_u32_u24_sdwa v6, v37, s6 dst_sel:DWORD dst_unused:UNUSED_PAD src0_sel:WORD_0 src1_sel:DWORD
	v_lshrrev_b32_e32 v48, 17, v6
	v_mul_u32_u24_sdwa v0, v7, s6 dst_sel:DWORD dst_unused:UNUSED_PAD src0_sel:WORD_0 src1_sel:DWORD
	v_mul_lo_u16_e32 v8, 3, v48
	v_lshrrev_b32_e32 v0, 17, v0
	v_sub_u16_e32 v49, v37, v8
	v_mul_lo_u16_e32 v1, 3, v0
	v_lshlrev_b16_e32 v8, 1, v49
	v_sub_u16_e32 v1, v7, v1
	ds_read2_b32 v[6:7], v138 offset0:56 offset1:164
	v_lshlrev_b32_e32 v11, 2, v8
	ds_read2_b32 v[8:9], v137 offset0:112 offset1:220
	global_load_dwordx2 v[71:72], v10, s[2:3]
	global_load_dwordx2 v[67:68], v11, s[2:3]
	ds_read2_b32 v[10:11], v136 offset1:108
	s_waitcnt lgkmcnt(2)
	v_lshrrev_b32_e32 v14, 16, v6
	v_mad_legacy_u16 v4, v4, 9, v5
	s_waitcnt lgkmcnt(1)
	v_lshrrev_b32_e32 v16, 16, v8
	v_lshlrev_b32_e32 v168, 2, v4
	s_waitcnt lgkmcnt(0)
	v_lshrrev_b32_e32 v18, 16, v10
	v_mad_legacy_u16 v2, v2, 9, v3
	v_lshlrev_b32_e32 v170, 2, v2
	v_mad_legacy_u16 v0, v0, 9, v1
	v_lshlrev_b32_e32 v171, 2, v0
	s_waitcnt vmcnt(3)
	v_mul_f16_sdwa v15, v6, v65 dst_sel:DWORD dst_unused:UNUSED_PAD src0_sel:DWORD src1_sel:WORD_1
	v_fma_f16 v15, v14, v65, v15
	v_mul_f16_sdwa v17, v8, v66 dst_sel:DWORD dst_unused:UNUSED_PAD src0_sel:DWORD src1_sel:WORD_1
	v_mul_f16_sdwa v14, v14, v65 dst_sel:DWORD dst_unused:UNUSED_PAD src0_sel:DWORD src1_sel:WORD_1
	v_fma_f16 v17, v16, v66, v17
	v_fma_f16 v6, v6, v65, -v14
	v_mul_f16_sdwa v14, v16, v66 dst_sel:DWORD dst_unused:UNUSED_PAD src0_sel:DWORD src1_sel:WORD_1
	v_add_f16_e32 v19, v18, v15
	v_sub_f16_e32 v50, v15, v17
	v_add_f16_e32 v15, v15, v17
	v_fma_f16 v8, v8, v66, -v14
	v_fma_f16 v51, v15, -0.5, v18
	v_add_f16_e32 v14, v10, v6
	v_add_f16_e32 v15, v6, v8
	;; [unrolled: 1-line block ×3, first 2 shown]
	v_sub_f16_e32 v6, v6, v8
	v_mul_u32_u24_e32 v8, 9, v12
	v_fma_f16 v10, v15, -0.5, v10
	v_add_lshl_u32 v159, v8, v13, 2
	v_fma_f16 v12, v50, s0, v10
	v_fma_f16 v13, v6, s1, v51
	v_pack_b32_f16 v52, v12, v13
	v_mul_u32_u24_sdwa v12, v38, s6 dst_sel:DWORD dst_unused:UNUSED_PAD src0_sel:WORD_0 src1_sel:DWORD
	v_lshrrev_b32_e32 v53, 17, v12
	v_mul_lo_u16_e32 v12, 3, v53
	v_sub_u16_e32 v54, v38, v12
	v_add_f16_e32 v19, v19, v17
	v_lshlrev_b16_e32 v12, 1, v54
	v_pack_b32_f16 v8, v14, v19
	v_lshlrev_b32_e32 v12, 2, v12
	v_lshlrev_b16_e32 v13, 1, v41
	v_lshlrev_b16_e32 v14, 1, v43
	;; [unrolled: 1-line block ×5, first 2 shown]
	v_lshlrev_b32_e32 v13, 2, v13
	v_lshlrev_b32_e32 v14, 2, v14
	;; [unrolled: 1-line block ×5, first 2 shown]
	global_load_dwordx2 v[83:84], v12, s[2:3]
	global_load_dwordx2 v[81:82], v13, s[2:3]
	;; [unrolled: 1-line block ×6, first 2 shown]
	ds_read2_b32 v[12:13], v134 offset0:88 offset1:196
	ds_read2_b32 v[14:15], v130 offset0:16 offset1:124
	;; [unrolled: 1-line block ×12, first 2 shown]
	s_waitcnt vmcnt(0) lgkmcnt(0)
	s_barrier
	ds_write2_b32 v159, v8, v52 offset1:3
	v_lshrrev_b32_e32 v8, 16, v7
	v_mul_f16_sdwa v52, v8, v69 dst_sel:DWORD dst_unused:UNUSED_PAD src0_sel:DWORD src1_sel:WORD_1
	v_fma_f16 v52, v7, v69, -v52
	v_mul_f16_sdwa v7, v7, v69 dst_sel:DWORD dst_unused:UNUSED_PAD src0_sel:DWORD src1_sel:WORD_1
	v_fma_f16 v7, v8, v69, v7
	v_lshrrev_b32_e32 v8, 16, v9
	v_mul_f16_sdwa v55, v8, v70 dst_sel:DWORD dst_unused:UNUSED_PAD src0_sel:DWORD src1_sel:WORD_1
	v_fma_f16 v55, v9, v70, -v55
	v_mul_f16_sdwa v9, v9, v70 dst_sel:DWORD dst_unused:UNUSED_PAD src0_sel:DWORD src1_sel:WORD_1
	v_fma_f16 v8, v8, v70, v9
	v_fma_f16 v9, v50, s1, v10
	;; [unrolled: 1-line block ×3, first 2 shown]
	v_add_f16_e32 v10, v52, v55
	v_lshrrev_b32_e32 v50, 16, v11
	v_fma_f16 v10, v10, -0.5, v11
	v_add_f16_e32 v11, v11, v52
	v_add_f16_e32 v51, v50, v7
	v_sub_f16_e32 v56, v7, v8
	v_add_f16_e32 v7, v7, v8
	v_pack_b32_f16 v6, v9, v6
	v_add_f16_e32 v51, v51, v8
	v_fma_f16 v7, v7, -0.5, v50
	v_add_f16_e32 v8, v11, v55
	v_sub_f16_e32 v11, v52, v55
	ds_write_b32 v159, v6 offset:24
	v_mul_u32_u24_e32 v6, 9, v44
	v_add_lshl_u32 v160, v6, v45, 2
	v_pack_b32_f16 v6, v8, v51
	v_fma_f16 v8, v56, s0, v10
	v_fma_f16 v9, v11, s1, v7
	v_pack_b32_f16 v8, v8, v9
	ds_write2_b32 v160, v6, v8 offset1:3
	v_fma_f16 v6, v56, s1, v10
	v_fma_f16 v7, v11, s0, v7
	v_lshrrev_b32_e32 v8, 16, v14
	v_mul_f16_sdwa v9, v14, v71 dst_sel:DWORD dst_unused:UNUSED_PAD src0_sel:DWORD src1_sel:WORD_1
	v_lshrrev_b32_e32 v10, 16, v16
	v_mul_f16_sdwa v11, v16, v72 dst_sel:DWORD dst_unused:UNUSED_PAD src0_sel:DWORD src1_sel:WORD_1
	v_fma_f16 v9, v8, v71, v9
	v_fma_f16 v11, v10, v72, v11
	v_lshrrev_b32_e32 v44, 16, v12
	v_mul_f16_sdwa v8, v8, v71 dst_sel:DWORD dst_unused:UNUSED_PAD src0_sel:DWORD src1_sel:WORD_1
	v_mul_f16_sdwa v10, v10, v72 dst_sel:DWORD dst_unused:UNUSED_PAD src0_sel:DWORD src1_sel:WORD_1
	v_add_f16_e32 v45, v44, v9
	v_fma_f16 v8, v14, v71, -v8
	v_fma_f16 v10, v16, v72, -v10
	v_add_f16_e32 v45, v45, v11
	v_sub_f16_e32 v50, v9, v11
	v_add_f16_e32 v9, v9, v11
	v_add_f16_e32 v11, v12, v8
	;; [unrolled: 1-line block ×3, first 2 shown]
	v_fma_f16 v9, v9, -0.5, v44
	v_add_f16_e32 v11, v11, v10
	v_sub_f16_e32 v8, v8, v10
	v_pack_b32_f16 v6, v6, v7
	v_fma_f16 v10, v14, -0.5, v12
	ds_write_b32 v160, v6 offset:24
	v_mad_legacy_u16 v6, v46, 9, v47
	v_pack_b32_f16 v7, v11, v45
	v_fma_f16 v11, v50, s0, v10
	v_fma_f16 v12, v8, s1, v9
	v_pack_b32_f16 v11, v11, v12
	v_lshlrev_b32_e32 v162, 2, v6
	ds_write2_b32 v162, v7, v11 offset1:3
	v_lshrrev_b32_e32 v6, 16, v15
	v_mul_f16_sdwa v11, v15, v67 dst_sel:DWORD dst_unused:UNUSED_PAD src0_sel:DWORD src1_sel:WORD_1
	v_mul_f16_sdwa v7, v6, v67 dst_sel:DWORD dst_unused:UNUSED_PAD src0_sel:DWORD src1_sel:WORD_1
	v_fma_f16 v6, v6, v67, v11
	v_lshrrev_b32_e32 v11, 16, v17
	v_mul_f16_sdwa v12, v11, v68 dst_sel:DWORD dst_unused:UNUSED_PAD src0_sel:DWORD src1_sel:WORD_1
	v_fma_f16 v7, v15, v67, -v7
	v_fma_f16 v12, v17, v68, -v12
	v_mul_f16_sdwa v14, v17, v68 dst_sel:DWORD dst_unused:UNUSED_PAD src0_sel:DWORD src1_sel:WORD_1
	v_fma_f16 v11, v11, v68, v14
	v_fma_f16 v8, v8, s0, v9
	v_add_f16_e32 v9, v7, v12
	v_lshrrev_b32_e32 v14, 16, v13
	v_fma_f16 v10, v50, s1, v10
	v_fma_f16 v9, v9, -0.5, v13
	v_add_f16_e32 v13, v13, v7
	v_add_f16_e32 v15, v14, v6
	v_sub_f16_e32 v16, v6, v11
	v_add_f16_e32 v6, v6, v11
	v_add_f16_e32 v15, v15, v11
	v_fma_f16 v6, v6, -0.5, v14
	v_add_f16_e32 v11, v13, v12
	v_sub_f16_e32 v7, v7, v12
	v_pack_b32_f16 v8, v10, v8
	ds_write_b32 v162, v8 offset:24
	v_mad_legacy_u16 v8, v48, 9, v49
	v_pack_b32_f16 v10, v11, v15
	v_fma_f16 v11, v16, s0, v9
	v_fma_f16 v12, v7, s1, v6
	v_pack_b32_f16 v11, v11, v12
	v_lshlrev_b32_e32 v163, 2, v8
	ds_write2_b32 v163, v10, v11 offset1:3
	v_fma_f16 v8, v16, s1, v9
	v_fma_f16 v6, v7, s0, v6
	v_lshrrev_b32_e32 v7, 16, v20
	v_mul_f16_sdwa v9, v20, v83 dst_sel:DWORD dst_unused:UNUSED_PAD src0_sel:DWORD src1_sel:WORD_1
	v_lshrrev_b32_e32 v10, 16, v22
	v_mul_f16_sdwa v11, v22, v84 dst_sel:DWORD dst_unused:UNUSED_PAD src0_sel:DWORD src1_sel:WORD_1
	v_fma_f16 v9, v7, v83, v9
	v_fma_f16 v11, v10, v84, v11
	v_lshrrev_b32_e32 v12, 16, v18
	v_mul_f16_sdwa v7, v7, v83 dst_sel:DWORD dst_unused:UNUSED_PAD src0_sel:DWORD src1_sel:WORD_1
	v_mul_f16_sdwa v10, v10, v84 dst_sel:DWORD dst_unused:UNUSED_PAD src0_sel:DWORD src1_sel:WORD_1
	v_add_f16_e32 v13, v12, v9
	v_sub_f16_e32 v14, v9, v11
	v_add_f16_e32 v9, v9, v11
	v_fma_f16 v7, v20, v83, -v7
	v_fma_f16 v10, v22, v84, -v10
	v_add_f16_e32 v13, v13, v11
	v_fma_f16 v9, v9, -0.5, v12
	v_add_f16_e32 v11, v18, v7
	v_add_f16_e32 v12, v7, v10
	;; [unrolled: 1-line block ×3, first 2 shown]
	v_sub_f16_e32 v7, v7, v10
	v_pack_b32_f16 v6, v8, v6
	v_fma_f16 v10, v12, -0.5, v18
	ds_write_b32 v163, v6 offset:24
	v_mad_legacy_u16 v6, v53, 9, v54
	v_pack_b32_f16 v8, v11, v13
	v_fma_f16 v11, v14, s0, v10
	v_fma_f16 v12, v7, s1, v9
	v_pack_b32_f16 v11, v11, v12
	v_lshlrev_b32_e32 v164, 2, v6
	ds_write2_b32 v164, v8, v11 offset1:3
	v_lshrrev_b32_e32 v6, 16, v21
	v_mul_f16_sdwa v11, v21, v81 dst_sel:DWORD dst_unused:UNUSED_PAD src0_sel:DWORD src1_sel:WORD_1
	v_mul_f16_sdwa v8, v6, v81 dst_sel:DWORD dst_unused:UNUSED_PAD src0_sel:DWORD src1_sel:WORD_1
	v_fma_f16 v6, v6, v81, v11
	v_lshrrev_b32_e32 v11, 16, v23
	v_mul_f16_sdwa v12, v11, v82 dst_sel:DWORD dst_unused:UNUSED_PAD src0_sel:DWORD src1_sel:WORD_1
	v_mul_f16_sdwa v13, v23, v82 dst_sel:DWORD dst_unused:UNUSED_PAD src0_sel:DWORD src1_sel:WORD_1
	v_fma_f16 v8, v21, v81, -v8
	v_fma_f16 v12, v23, v82, -v12
	v_fma_f16 v11, v11, v82, v13
	v_lshrrev_b32_e32 v13, 16, v19
	v_fma_f16 v10, v14, s1, v10
	v_fma_f16 v7, v7, s0, v9
	v_add_f16_e32 v9, v8, v12
	v_add_f16_e32 v14, v19, v8
	;; [unrolled: 1-line block ×3, first 2 shown]
	v_sub_f16_e32 v16, v6, v11
	v_add_f16_e32 v6, v6, v11
	v_fma_f16 v9, v9, -0.5, v19
	v_add_f16_e32 v15, v15, v11
	v_fma_f16 v6, v6, -0.5, v13
	v_add_f16_e32 v11, v14, v12
	v_sub_f16_e32 v8, v8, v12
	v_pack_b32_f16 v7, v10, v7
	ds_write_b32 v164, v7 offset:24
	v_mad_legacy_u16 v7, v30, 9, v41
	v_pack_b32_f16 v10, v11, v15
	v_fma_f16 v11, v16, s0, v9
	v_fma_f16 v12, v8, s1, v6
	v_pack_b32_f16 v11, v11, v12
	v_lshlrev_b32_e32 v165, 2, v7
	ds_write2_b32 v165, v10, v11 offset1:3
	v_fma_f16 v7, v16, s1, v9
	v_fma_f16 v6, v8, s0, v6
	v_lshrrev_b32_e32 v8, 16, v26
	v_mul_f16_sdwa v9, v26, v79 dst_sel:DWORD dst_unused:UNUSED_PAD src0_sel:DWORD src1_sel:WORD_1
	v_lshrrev_b32_e32 v10, 16, v28
	v_mul_f16_sdwa v11, v28, v80 dst_sel:DWORD dst_unused:UNUSED_PAD src0_sel:DWORD src1_sel:WORD_1
	v_fma_f16 v9, v8, v79, v9
	v_fma_f16 v11, v10, v80, v11
	v_lshrrev_b32_e32 v12, 16, v24
	v_mul_f16_sdwa v8, v8, v79 dst_sel:DWORD dst_unused:UNUSED_PAD src0_sel:DWORD src1_sel:WORD_1
	v_mul_f16_sdwa v10, v10, v80 dst_sel:DWORD dst_unused:UNUSED_PAD src0_sel:DWORD src1_sel:WORD_1
	v_add_f16_e32 v13, v12, v9
	v_sub_f16_e32 v14, v9, v11
	v_add_f16_e32 v9, v9, v11
	v_fma_f16 v8, v26, v79, -v8
	v_fma_f16 v10, v28, v80, -v10
	v_add_f16_e32 v13, v13, v11
	v_fma_f16 v9, v9, -0.5, v12
	v_add_f16_e32 v11, v24, v8
	v_add_f16_e32 v12, v8, v10
	;; [unrolled: 1-line block ×3, first 2 shown]
	v_sub_f16_e32 v8, v8, v10
	v_pack_b32_f16 v6, v7, v6
	v_fma_f16 v10, v12, -0.5, v24
	ds_write_b32 v165, v6 offset:24
	v_mad_legacy_u16 v6, v42, 9, v43
	v_pack_b32_f16 v7, v11, v13
	v_fma_f16 v11, v14, s0, v10
	v_fma_f16 v12, v8, s1, v9
	v_pack_b32_f16 v11, v11, v12
	v_lshlrev_b32_e32 v167, 2, v6
	ds_write2_b32 v167, v7, v11 offset1:3
	v_lshrrev_b32_e32 v6, 16, v27
	v_mul_f16_sdwa v11, v27, v77 dst_sel:DWORD dst_unused:UNUSED_PAD src0_sel:DWORD src1_sel:WORD_1
	v_mul_f16_sdwa v7, v6, v77 dst_sel:DWORD dst_unused:UNUSED_PAD src0_sel:DWORD src1_sel:WORD_1
	v_fma_f16 v6, v6, v77, v11
	v_lshrrev_b32_e32 v11, 16, v29
	v_mul_f16_sdwa v12, v11, v78 dst_sel:DWORD dst_unused:UNUSED_PAD src0_sel:DWORD src1_sel:WORD_1
	v_mul_f16_sdwa v13, v29, v78 dst_sel:DWORD dst_unused:UNUSED_PAD src0_sel:DWORD src1_sel:WORD_1
	v_fma_f16 v7, v27, v77, -v7
	v_fma_f16 v12, v29, v78, -v12
	v_fma_f16 v11, v11, v78, v13
	v_lshrrev_b32_e32 v13, 16, v25
	v_fma_f16 v10, v14, s1, v10
	v_fma_f16 v8, v8, s0, v9
	v_add_f16_e32 v9, v7, v12
	v_add_f16_e32 v15, v13, v6
	v_sub_f16_e32 v16, v6, v11
	v_add_f16_e32 v6, v6, v11
	v_fma_f16 v9, v9, -0.5, v25
	v_add_f16_e32 v14, v25, v7
	v_fma_f16 v6, v6, -0.5, v13
	v_sub_f16_e32 v7, v7, v12
	v_pack_b32_f16 v8, v10, v8
	v_add_f16_e32 v15, v15, v11
	v_add_f16_e32 v11, v14, v12
	ds_write_b32 v167, v8 offset:24
	v_fma_f16 v8, v16, s0, v9
	v_fma_f16 v10, v7, s1, v6
	v_pack_b32_f16 v5, v11, v15
	v_pack_b32_f16 v8, v8, v10
	ds_write2_b32 v168, v5, v8 offset1:3
	v_fma_f16 v4, v16, s1, v9
	v_fma_f16 v5, v7, s0, v6
	v_lshrrev_b32_e32 v6, 16, v34
	v_mul_f16_sdwa v7, v34, v75 dst_sel:DWORD dst_unused:UNUSED_PAD src0_sel:DWORD src1_sel:WORD_1
	v_lshrrev_b32_e32 v8, 16, v39
	v_mul_f16_sdwa v9, v39, v76 dst_sel:DWORD dst_unused:UNUSED_PAD src0_sel:DWORD src1_sel:WORD_1
	v_fma_f16 v7, v6, v75, v7
	v_fma_f16 v9, v8, v76, v9
	v_lshrrev_b32_e32 v10, 16, v32
	v_mul_f16_sdwa v6, v6, v75 dst_sel:DWORD dst_unused:UNUSED_PAD src0_sel:DWORD src1_sel:WORD_1
	v_mul_f16_sdwa v8, v8, v76 dst_sel:DWORD dst_unused:UNUSED_PAD src0_sel:DWORD src1_sel:WORD_1
	v_add_f16_e32 v11, v10, v7
	v_sub_f16_e32 v12, v7, v9
	v_add_f16_e32 v7, v7, v9
	v_fma_f16 v6, v34, v75, -v6
	v_fma_f16 v8, v39, v76, -v8
	v_fma_f16 v7, v7, -0.5, v10
	v_add_f16_e32 v10, v6, v8
	v_pack_b32_f16 v4, v4, v5
	v_add_f16_e32 v11, v11, v9
	v_add_f16_e32 v9, v32, v6
	v_sub_f16_e32 v6, v6, v8
	ds_write_b32 v168, v4 offset:24
	v_fma_f16 v4, v10, -0.5, v32
	v_add_f16_e32 v9, v9, v8
	v_fma_f16 v5, v12, s0, v4
	v_fma_f16 v8, v6, s1, v7
	v_pack_b32_f16 v3, v9, v11
	v_pack_b32_f16 v5, v5, v8
	ds_write2_b32 v170, v3, v5 offset1:3
	v_lshrrev_b32_e32 v2, 16, v35
	v_mul_f16_sdwa v5, v35, v73 dst_sel:DWORD dst_unused:UNUSED_PAD src0_sel:DWORD src1_sel:WORD_1
	v_mul_f16_sdwa v3, v2, v73 dst_sel:DWORD dst_unused:UNUSED_PAD src0_sel:DWORD src1_sel:WORD_1
	v_fma_f16 v2, v2, v73, v5
	v_lshrrev_b32_e32 v5, 16, v40
	v_mul_f16_sdwa v8, v5, v74 dst_sel:DWORD dst_unused:UNUSED_PAD src0_sel:DWORD src1_sel:WORD_1
	v_mul_f16_sdwa v9, v40, v74 dst_sel:DWORD dst_unused:UNUSED_PAD src0_sel:DWORD src1_sel:WORD_1
	v_fma_f16 v3, v35, v73, -v3
	v_fma_f16 v8, v40, v74, -v8
	v_fma_f16 v5, v5, v74, v9
	v_lshrrev_b32_e32 v9, 16, v33
	v_fma_f16 v4, v12, s1, v4
	v_fma_f16 v6, v6, s0, v7
	v_add_f16_e32 v7, v3, v8
	v_add_f16_e32 v10, v33, v3
	;; [unrolled: 1-line block ×3, first 2 shown]
	v_sub_f16_e32 v12, v2, v5
	v_add_f16_e32 v2, v2, v5
	v_fma_f16 v7, v7, -0.5, v33
	v_add_f16_e32 v11, v11, v5
	v_fma_f16 v2, v2, -0.5, v9
	v_add_f16_e32 v5, v10, v8
	v_sub_f16_e32 v3, v3, v8
	v_pack_b32_f16 v4, v4, v6
	ds_write_b32 v170, v4 offset:24
	v_pack_b32_f16 v1, v5, v11
	v_fma_f16 v4, v12, s0, v7
	v_fma_f16 v5, v3, s1, v2
	v_pack_b32_f16 v4, v4, v5
	ds_write2_b32 v171, v1, v4 offset1:3
	v_fma_f16 v0, v12, s1, v7
	v_fma_f16 v1, v3, s0, v2
	v_pack_b32_f16 v0, v0, v1
	v_mov_b32_e32 v10, 57
	ds_write_b32 v171, v0 offset:24
	v_mul_lo_u16_sdwa v0, v132, v10 dst_sel:DWORD dst_unused:UNUSED_PAD src0_sel:BYTE_0 src1_sel:DWORD
	v_lshrrev_b16_e32 v32, 9, v0
	v_mul_lo_u16_e32 v0, 9, v32
	v_sub_u16_e32 v0, v132, v0
	v_and_b32_e32 v33, 0xff, v0
	v_mad_u64_u32 v[8:9], s[6:7], v33, 36, s[2:3]
	s_waitcnt lgkmcnt(0)
	s_barrier
	global_load_dwordx4 v[4:7], v[8:9], off offset:24
	global_load_dwordx4 v[0:3], v[8:9], off offset:40
	global_load_dword v158, v[8:9], off offset:56
	ds_read2_b32 v[19:20], v111 offset0:136 offset1:244
	ds_read2_b32 v[21:22], v130 offset0:16 offset1:124
	;; [unrolled: 1-line block ×5, first 2 shown]
	s_waitcnt lgkmcnt(4)
	v_lshrrev_b32_e32 v8, 16, v19
	ds_read2_b32 v[14:15], v124 offset0:104 offset1:212
	ds_read2_b32 v[16:17], v137 offset0:112 offset1:220
	ds_read2_b32 v[87:88], v136 offset1:108
	s_waitcnt lgkmcnt(0)
	v_lshrrev_b32_e32 v185, 16, v87
	s_waitcnt vmcnt(2)
	v_mul_f16_sdwa v9, v19, v5 dst_sel:DWORD dst_unused:UNUSED_PAD src0_sel:DWORD src1_sel:WORD_1
	v_fma_f16 v39, v8, v5, v9
	v_mul_f16_sdwa v8, v8, v5 dst_sel:DWORD dst_unused:UNUSED_PAD src0_sel:DWORD src1_sel:WORD_1
	v_fma_f16 v40, v19, v5, -v8
	v_lshrrev_b32_e32 v8, 16, v21
	v_mul_f16_sdwa v9, v21, v7 dst_sel:DWORD dst_unused:UNUSED_PAD src0_sel:DWORD src1_sel:WORD_1
	v_fma_f16 v41, v8, v7, v9
	v_mul_f16_sdwa v8, v8, v7 dst_sel:DWORD dst_unused:UNUSED_PAD src0_sel:DWORD src1_sel:WORD_1
	v_fma_f16 v42, v21, v7, -v8
	v_lshrrev_b32_e32 v8, 16, v23
	s_waitcnt vmcnt(1)
	v_mul_f16_sdwa v9, v23, v1 dst_sel:DWORD dst_unused:UNUSED_PAD src0_sel:DWORD src1_sel:WORD_1
	v_fma_f16 v21, v8, v1, v9
	v_mul_f16_sdwa v8, v8, v1 dst_sel:DWORD dst_unused:UNUSED_PAD src0_sel:DWORD src1_sel:WORD_1
	v_fma_f16 v43, v23, v1, -v8
	v_lshrrev_b32_e32 v8, 16, v25
	v_mul_f16_sdwa v9, v25, v3 dst_sel:DWORD dst_unused:UNUSED_PAD src0_sel:DWORD src1_sel:WORD_1
	v_fma_f16 v23, v8, v3, v9
	v_mul_f16_sdwa v8, v8, v3 dst_sel:DWORD dst_unused:UNUSED_PAD src0_sel:DWORD src1_sel:WORD_1
	v_fma_f16 v25, v25, v3, -v8
	v_sub_f16_e32 v8, v40, v42
	v_sub_f16_e32 v9, v25, v43
	v_add_f16_e32 v52, v8, v9
	v_sub_f16_e32 v8, v39, v41
	v_sub_f16_e32 v9, v23, v21
	v_add_f16_e32 v53, v8, v9
	v_lshrrev_b32_e32 v8, 16, v13
	v_mul_f16_sdwa v9, v13, v6 dst_sel:DWORD dst_unused:UNUSED_PAD src0_sel:DWORD src1_sel:WORD_1
	v_fma_f16 v54, v8, v6, v9
	v_mul_f16_sdwa v8, v8, v6 dst_sel:DWORD dst_unused:UNUSED_PAD src0_sel:DWORD src1_sel:WORD_1
	ds_read2_b32 v[18:19], v112 offset0:120 offset1:228
	v_fma_f16 v56, v13, v6, -v8
	v_lshrrev_b32_e32 v8, 16, v15
	v_mul_f16_sdwa v9, v15, v0 dst_sel:DWORD dst_unused:UNUSED_PAD src0_sel:DWORD src1_sel:WORD_1
	v_fma_f16 v55, v8, v0, v9
	v_mul_f16_sdwa v8, v8, v0 dst_sel:DWORD dst_unused:UNUSED_PAD src0_sel:DWORD src1_sel:WORD_1
	v_fma_f16 v58, v15, v0, -v8
	v_lshrrev_b32_e32 v8, 16, v17
	v_mul_f16_sdwa v9, v17, v2 dst_sel:DWORD dst_unused:UNUSED_PAD src0_sel:DWORD src1_sel:WORD_1
	v_fma_f16 v57, v8, v2, v9
	v_mul_f16_sdwa v8, v8, v2 dst_sel:DWORD dst_unused:UNUSED_PAD src0_sel:DWORD src1_sel:WORD_1
	v_fma_f16 v60, v17, v2, -v8
	s_waitcnt lgkmcnt(0)
	v_lshrrev_b32_e32 v17, 16, v19
	s_waitcnt vmcnt(0)
	v_mul_f16_sdwa v27, v19, v158 dst_sel:DWORD dst_unused:UNUSED_PAD src0_sel:DWORD src1_sel:WORD_1
	v_fma_f16 v59, v17, v158, v27
	ds_read2_b32 v[27:28], v134 offset0:88 offset1:196
	v_mul_f16_sdwa v17, v17, v158 dst_sel:DWORD dst_unused:UNUSED_PAD src0_sel:DWORD src1_sel:WORD_1
	v_fma_f16 v19, v19, v158, -v17
	v_sub_f16_e32 v17, v56, v58
	v_sub_f16_e32 v34, v19, v60
	v_mul_lo_u16_sdwa v9, v31, v10 dst_sel:DWORD dst_unused:UNUSED_PAD src0_sel:BYTE_0 src1_sel:DWORD
	v_add_f16_e32 v61, v17, v34
	v_sub_f16_e32 v17, v54, v55
	v_sub_f16_e32 v34, v59, v57
	v_lshrrev_b16_e32 v13, 9, v9
	v_add_f16_e32 v62, v17, v34
	s_waitcnt lgkmcnt(0)
	v_lshrrev_b32_e32 v17, 16, v28
	v_mul_f16_sdwa v34, v28, v4 dst_sel:DWORD dst_unused:UNUSED_PAD src0_sel:DWORD src1_sel:WORD_1
	v_mul_lo_u16_e32 v9, 9, v13
	v_fma_f16 v63, v17, v4, v34
	v_mul_f16_sdwa v17, v17, v4 dst_sel:DWORD dst_unused:UNUSED_PAD src0_sel:DWORD src1_sel:WORD_1
	v_sub_u16_e32 v9, v31, v9
	v_fma_f16 v169, v28, v4, -v17
	v_add_f16_e32 v28, v55, v57
	v_and_b32_e32 v15, 0xff, v9
	v_add_f16_e32 v17, v58, v60
	v_fma_f16 v179, v28, -0.5, v63
	v_sub_f16_e32 v180, v56, v19
	v_mad_u64_u32 v[29:30], s[6:7], v15, 36, s[2:3]
	v_fma_f16 v176, v17, -0.5, v169
	v_sub_f16_e32 v177, v54, v59
	v_fma_f16 v28, v180, s13, v179
	v_sub_f16_e32 v181, v58, v60
	s_movk_i32 s6, 0x38b4
	s_movk_i32 s7, 0x34f2
	v_fma_f16 v17, v177, s12, v176
	v_sub_f16_e32 v178, v55, v57
	v_fma_f16 v28, v181, s14, v28
	v_fma_f16 v17, v178, s6, v17
	;; [unrolled: 1-line block ×4, first 2 shown]
	v_mul_f16_e32 v34, 0x38b4, v28
	v_fma_f16 v182, v17, s15, v34
	v_mul_f16_e32 v17, 0xb8b4, v17
	v_fma_f16 v183, v28, s15, v17
	v_mul_u32_u24_e32 v17, 0x5a, v32
	v_add_lshl_u32 v161, v17, v33, 2
	v_add_f16_e32 v17, v87, v40
	v_add_f16_e32 v17, v17, v42
	;; [unrolled: 1-line block ×18, first 2 shown]
	v_pack_b32_f16 v189, v17, v28
	v_add_f16_e32 v17, v42, v43
	v_fma_f16 v190, v17, -0.5, v87
	v_sub_f16_e32 v191, v39, v23
	v_fma_f16 v17, v191, s12, v190
	v_sub_f16_e32 v192, v41, v21
	v_fma_f16 v17, v192, s6, v17
	v_fma_f16 v193, v52, s7, v17
	v_add_f16_e32 v17, v41, v21
	v_fma_f16 v194, v17, -0.5, v185
	v_sub_f16_e32 v195, v40, v25
	v_fma_f16 v17, v195, s13, v194
	v_sub_f16_e32 v196, v42, v43
	v_fma_f16 v17, v196, s14, v17
	v_fma_f16 v197, v53, s7, v17
	v_add_f16_e32 v17, v193, v182
	v_add_f16_e32 v28, v197, v183
	v_pack_b32_f16 v198, v17, v28
	v_mul_u32_u24_sdwa v17, v36, s17 dst_sel:DWORD dst_unused:UNUSED_PAD src0_sel:WORD_0 src1_sel:DWORD
	global_load_dwordx4 v[8:11], v[29:30], off offset:24
	v_lshrrev_b32_e32 v199, 19, v17
	v_mul_lo_u16_e32 v17, 9, v199
	v_sub_u16_e32 v200, v36, v17
	v_mul_lo_u16_e32 v28, 36, v200
	v_mov_b32_e32 v17, s3
	v_add_co_u32_e32 v32, vcc, s2, v28
	v_addc_co_u32_e32 v33, vcc, 0, v17, vcc
	global_load_dword v157, v[32:33], off offset:56
	global_load_dword v166, v[29:30], off offset:56
	global_load_dwordx4 v[44:47], v[29:30], off offset:40
	v_sub_f16_e32 v30, v42, v40
	v_add_f16_e32 v40, v40, v25
	v_sub_f16_e32 v25, v43, v25
	v_add_f16_e32 v25, v30, v25
	v_fma_f16 v30, v40, -0.5, v87
	v_fma_f16 v40, v192, s13, v30
	v_fma_f16 v30, v192, s12, v30
	;; [unrolled: 1-line block ×6, first 2 shown]
	v_add_f16_e32 v30, v39, v23
	v_fma_f16 v30, v30, -0.5, v185
	v_sub_f16_e32 v39, v41, v39
	v_sub_f16_e32 v21, v21, v23
	v_fma_f16 v23, v196, s12, v30
	v_fma_f16 v30, v196, s13, v30
	v_add_f16_e32 v21, v39, v21
	v_fma_f16 v23, v195, s14, v23
	v_fma_f16 v30, v195, s6, v30
	;; [unrolled: 1-line block ×4, first 2 shown]
	v_add_f16_e32 v30, v56, v19
	v_fma_f16 v30, v30, -0.5, v169
	v_sub_f16_e32 v39, v58, v56
	v_sub_f16_e32 v19, v60, v19
	v_add_f16_e32 v19, v39, v19
	v_fma_f16 v39, v178, s13, v30
	v_fma_f16 v30, v178, s12, v30
	;; [unrolled: 1-line block ×6, first 2 shown]
	v_add_f16_e32 v30, v54, v59
	v_fma_f16 v30, v30, -0.5, v63
	v_sub_f16_e32 v41, v55, v54
	v_sub_f16_e32 v42, v57, v59
	v_add_f16_e32 v41, v41, v42
	v_fma_f16 v42, v181, s12, v30
	v_fma_f16 v42, v180, s14, v42
	;; [unrolled: 1-line block ×6, first 2 shown]
	v_mul_f16_e32 v41, 0x3b9c, v42
	v_fma_f16 v41, v39, s7, v41
	v_mul_f16_e32 v39, 0xbb9c, v39
	v_fma_f16 v39, v42, s7, v39
	;; [unrolled: 2-line block ×4, first 2 shown]
	v_add_f16_e32 v30, v40, v41
	v_add_f16_e32 v43, v23, v39
	v_pack_b32_f16 v30, v30, v43
	v_add_f16_e32 v43, v25, v42
	v_add_f16_e32 v54, v21, v19
	v_pack_b32_f16 v43, v43, v54
	ds_read2_b32 v[28:29], v121 offset0:48 offset1:156
	ds_read2_b32 v[89:90], v138 offset0:56 offset1:164
	ds_read2_b32 v[91:92], v115 offset0:64 offset1:172
	ds_read2_b32 v[172:173], v133 offset0:72 offset1:180
	ds_read2_b32 v[174:175], v104 offset0:80 offset1:188
	global_load_dwordx4 v[48:51], v[32:33], off offset:24
	s_nop 0
	global_load_dwordx4 v[32:35], v[32:33], off offset:40
	s_waitcnt vmcnt(0) lgkmcnt(0)
	s_barrier
	ds_write2_b32 v161, v30, v43 offset0:18 offset1:27
	v_fma_f16 v30, v191, s13, v190
	v_fma_f16 v30, v192, s14, v30
	;; [unrolled: 1-line block ×12, first 2 shown]
	v_mul_f16_e32 v54, 0xba79, v52
	v_fma_f16 v54, v53, s6, v54
	v_mul_f16_e32 v53, 0xba79, v53
	v_fma_f16 v52, v52, s14, v53
	v_sub_f16_e32 v53, v184, v187
	v_sub_f16_e32 v55, v186, v188
	v_add_f16_e32 v56, v30, v54
	v_add_f16_e32 v57, v43, v52
	v_pack_b32_f16 v56, v56, v57
	v_pack_b32_f16 v53, v53, v55
	ds_write2_b32 v161, v56, v53 offset0:36 offset1:45
	v_sub_f16_e32 v53, v193, v182
	v_sub_f16_e32 v40, v40, v41
	;; [unrolled: 1-line block ×4, first 2 shown]
	v_pack_b32_f16 v39, v53, v41
	v_pack_b32_f16 v23, v40, v23
	ds_write2_b32 v161, v39, v23 offset0:54 offset1:63
	v_sub_f16_e32 v23, v25, v42
	v_sub_f16_e32 v25, v30, v54
	;; [unrolled: 1-line block ×4, first 2 shown]
	v_pack_b32_f16 v19, v23, v19
	v_pack_b32_f16 v21, v25, v21
	ds_write2_b32 v161, v19, v21 offset0:72 offset1:81
	v_lshrrev_b32_e32 v19, 16, v20
	v_mul_f16_sdwa v21, v19, v9 dst_sel:DWORD dst_unused:UNUSED_PAD src0_sel:DWORD src1_sel:WORD_1
	v_fma_f16 v21, v20, v9, -v21
	v_mul_f16_sdwa v20, v20, v9 dst_sel:DWORD dst_unused:UNUSED_PAD src0_sel:DWORD src1_sel:WORD_1
	v_fma_f16 v19, v19, v9, v20
	v_lshrrev_b32_e32 v20, 16, v22
	v_mul_f16_sdwa v23, v20, v11 dst_sel:DWORD dst_unused:UNUSED_PAD src0_sel:DWORD src1_sel:WORD_1
	v_fma_f16 v23, v22, v11, -v23
	v_mul_f16_sdwa v22, v22, v11 dst_sel:DWORD dst_unused:UNUSED_PAD src0_sel:DWORD src1_sel:WORD_1
	v_fma_f16 v20, v20, v11, v22
	;; [unrolled: 5-line block ×4, first 2 shown]
	v_sub_f16_e32 v42, v21, v23
	v_sub_f16_e32 v43, v30, v25
	v_add_f16_e32 v42, v42, v43
	v_sub_f16_e32 v43, v19, v20
	v_sub_f16_e32 v52, v24, v22
	v_add_f16_e32 v43, v43, v52
	v_lshrrev_b32_e32 v52, 16, v89
	v_mul_f16_sdwa v53, v89, v10 dst_sel:DWORD dst_unused:UNUSED_PAD src0_sel:DWORD src1_sel:WORD_1
	v_lshrrev_b32_e32 v54, 16, v91
	v_mul_f16_sdwa v55, v91, v44 dst_sel:DWORD dst_unused:UNUSED_PAD src0_sel:DWORD src1_sel:WORD_1
	;; [unrolled: 2-line block ×4, first 2 shown]
	v_fma_f16 v53, v52, v10, v53
	v_mul_f16_sdwa v52, v52, v10 dst_sel:DWORD dst_unused:UNUSED_PAD src0_sel:DWORD src1_sel:WORD_1
	v_fma_f16 v55, v54, v44, v55
	v_mul_f16_sdwa v54, v54, v44 dst_sel:DWORD dst_unused:UNUSED_PAD src0_sel:DWORD src1_sel:WORD_1
	;; [unrolled: 2-line block ×4, first 2 shown]
	v_fma_f16 v52, v89, v10, -v52
	v_fma_f16 v54, v91, v44, -v54
	v_fma_f16 v56, v172, v46, -v56
	v_fma_f16 v58, v174, v166, -v58
	v_sub_f16_e32 v60, v52, v54
	v_sub_f16_e32 v61, v58, v56
	v_add_f16_e32 v60, v60, v61
	v_sub_f16_e32 v61, v53, v55
	v_sub_f16_e32 v62, v59, v57
	v_add_f16_e32 v61, v61, v62
	v_lshrrev_b32_e32 v62, 16, v28
	v_mul_f16_sdwa v63, v28, v8 dst_sel:DWORD dst_unused:UNUSED_PAD src0_sel:DWORD src1_sel:WORD_1
	v_fma_f16 v63, v62, v8, v63
	v_mul_f16_sdwa v62, v62, v8 dst_sel:DWORD dst_unused:UNUSED_PAD src0_sel:DWORD src1_sel:WORD_1
	v_add_f16_e32 v91, v55, v57
	v_fma_f16 v28, v28, v8, -v62
	v_add_f16_e32 v62, v54, v56
	v_fma_f16 v91, v91, -0.5, v63
	v_sub_f16_e32 v172, v52, v58
	v_add_f16_e32 v26, v23, v25
	v_add_f16_e32 v39, v21, v30
	v_fma_f16 v62, v62, -0.5, v28
	v_sub_f16_e32 v87, v53, v59
	v_fma_f16 v169, v172, s13, v91
	v_sub_f16_e32 v174, v54, v56
	v_fma_f16 v26, v26, -0.5, v88
	v_fma_f16 v39, v39, -0.5, v88
	v_lshrrev_b32_e32 v40, 16, v88
	v_add_f16_e32 v41, v88, v21
	v_fma_f16 v88, v87, s12, v62
	v_sub_f16_e32 v89, v55, v57
	v_fma_f16 v169, v174, s14, v169
	v_fma_f16 v88, v89, s6, v88
	;; [unrolled: 1-line block ×4, first 2 shown]
	v_mul_f16_e32 v176, 0x38b4, v169
	v_fma_f16 v176, v88, s15, v176
	v_mul_f16_e32 v88, 0xb8b4, v88
	v_mul_u32_u24_e32 v13, 0x5a, v13
	v_fma_f16 v88, v169, s15, v88
	v_add_lshl_u32 v169, v13, v15, 2
	v_add_f16_e32 v13, v41, v23
	v_add_f16_e32 v15, v40, v19
	;; [unrolled: 1-line block ×17, first 2 shown]
	v_sub_f16_e32 v181, v20, v22
	v_sub_f16_e32 v183, v21, v30
	;; [unrolled: 1-line block ×5, first 2 shown]
	v_pack_b32_f16 v178, v178, v179
	v_sub_f16_e32 v179, v19, v24
	v_add_f16_e32 v21, v21, v23
	v_fma_f16 v23, v181, s13, v39
	v_fma_f16 v25, v181, s12, v39
	v_fma_f16 v23, v179, s6, v23
	v_fma_f16 v25, v179, s14, v25
	v_fma_f16 v23, v21, s7, v23
	v_fma_f16 v21, v21, s7, v25
	v_add_f16_e32 v25, v19, v24
	v_add_f16_e32 v182, v20, v22
	v_fma_f16 v25, v25, -0.5, v40
	v_sub_f16_e32 v19, v20, v19
	v_sub_f16_e32 v20, v22, v24
	v_add_f16_e32 v19, v19, v20
	v_fma_f16 v20, v185, s12, v25
	v_fma_f16 v22, v185, s13, v25
	v_fma_f16 v20, v183, s14, v20
	v_fma_f16 v22, v183, s6, v22
	v_fma_f16 v20, v19, s7, v20
	v_fma_f16 v19, v19, s7, v22
	v_add_f16_e32 v22, v52, v58
	v_fma_f16 v22, v22, -0.5, v28
	v_sub_f16_e32 v24, v54, v52
	v_sub_f16_e32 v25, v56, v58
	v_add_f16_e32 v24, v24, v25
	v_fma_f16 v25, v89, s13, v22
	v_fma_f16 v22, v89, s12, v22
	v_fma_f16 v25, v87, s6, v25
	v_fma_f16 v22, v87, s14, v22
	v_fma_f16 v25, v24, s7, v25
	v_fma_f16 v22, v24, s7, v22
	;; [unrolled: 11-line block ×3, first 2 shown]
	v_mul_f16_e32 v28, 0x3b9c, v30
	v_fma_f16 v28, v25, s7, v28
	v_mul_f16_e32 v25, 0xbb9c, v25
	v_fma_f16 v25, v30, s7, v25
	;; [unrolled: 2-line block ×4, first 2 shown]
	v_add_f16_e32 v24, v23, v28
	v_add_f16_e32 v39, v20, v25
	v_fma_f16 v182, v182, -0.5, v40
	v_pack_b32_f16 v24, v24, v39
	v_add_f16_e32 v39, v21, v30
	v_add_f16_e32 v40, v19, v22
	v_pack_b32_f16 v39, v39, v40
	ds_write2_b32 v161, v189, v198 offset1:9
	ds_write2_b32 v169, v24, v39 offset0:18 offset1:27
	v_fma_f16 v39, v87, s13, v62
	v_fma_f16 v180, v179, s12, v26
	v_fma_f16 v24, v179, s13, v26
	v_fma_f16 v39, v89, s14, v39
	v_fma_f16 v40, v172, s12, v91
	v_fma_f16 v180, v181, s6, v180
	v_fma_f16 v24, v181, s14, v24
	v_fma_f16 v39, v60, s7, v39
	v_fma_f16 v40, v174, s6, v40
	v_fma_f16 v180, v42, s7, v180
	v_fma_f16 v24, v42, s7, v24
	v_fma_f16 v26, v183, s12, v182
	v_fma_f16 v40, v61, s7, v40
	v_mul_f16_e32 v42, 0xba79, v39
	v_fma_f16 v26, v185, s6, v26
	v_fma_f16 v42, v40, s6, v42
	v_mul_f16_e32 v40, 0xba79, v40
	v_fma_f16 v184, v183, s13, v182
	v_fma_f16 v26, v43, s7, v26
	;; [unrolled: 1-line block ×4, first 2 shown]
	v_sub_f16_e32 v13, v13, v41
	v_sub_f16_e32 v15, v15, v177
	v_add_f16_e32 v40, v24, v42
	v_add_f16_e32 v41, v26, v39
	v_fma_f16 v184, v43, s7, v184
	v_pack_b32_f16 v40, v40, v41
	v_pack_b32_f16 v13, v13, v15
	ds_write2_b32 v169, v40, v13 offset0:36 offset1:45
	v_sub_f16_e32 v13, v180, v176
	v_sub_f16_e32 v15, v23, v28
	v_sub_f16_e32 v23, v184, v88
	v_sub_f16_e32 v20, v20, v25
	v_pack_b32_f16 v13, v13, v23
	v_pack_b32_f16 v15, v15, v20
	ds_write2_b32 v169, v13, v15 offset0:54 offset1:63
	v_sub_f16_e32 v13, v21, v30
	v_sub_f16_e32 v15, v24, v42
	;; [unrolled: 1-line block ×4, first 2 shown]
	v_pack_b32_f16 v13, v13, v19
	v_pack_b32_f16 v15, v15, v20
	ds_write2_b32 v169, v13, v15 offset0:72 offset1:81
	v_lshrrev_b32_e32 v13, 16, v29
	v_mul_f16_sdwa v19, v29, v48 dst_sel:DWORD dst_unused:UNUSED_PAD src0_sel:DWORD src1_sel:WORD_1
	v_mul_f16_sdwa v15, v13, v48 dst_sel:DWORD dst_unused:UNUSED_PAD src0_sel:DWORD src1_sel:WORD_1
	v_fma_f16 v13, v13, v48, v19
	v_lshrrev_b32_e32 v19, 16, v12
	v_mul_f16_sdwa v20, v19, v49 dst_sel:DWORD dst_unused:UNUSED_PAD src0_sel:DWORD src1_sel:WORD_1
	v_fma_f16 v20, v12, v49, -v20
	v_mul_f16_sdwa v12, v12, v49 dst_sel:DWORD dst_unused:UNUSED_PAD src0_sel:DWORD src1_sel:WORD_1
	v_fma_f16 v12, v19, v49, v12
	v_lshrrev_b32_e32 v19, 16, v90
	v_mul_f16_sdwa v22, v90, v50 dst_sel:DWORD dst_unused:UNUSED_PAD src0_sel:DWORD src1_sel:WORD_1
	v_mul_f16_sdwa v21, v19, v50 dst_sel:DWORD dst_unused:UNUSED_PAD src0_sel:DWORD src1_sel:WORD_1
	v_fma_f16 v19, v19, v50, v22
	v_lshrrev_b32_e32 v22, 16, v14
	v_mul_f16_sdwa v23, v22, v51 dst_sel:DWORD dst_unused:UNUSED_PAD src0_sel:DWORD src1_sel:WORD_1
	v_fma_f16 v23, v14, v51, -v23
	v_mul_f16_sdwa v14, v14, v51 dst_sel:DWORD dst_unused:UNUSED_PAD src0_sel:DWORD src1_sel:WORD_1
	v_fma_f16 v14, v22, v51, v14
	v_lshrrev_b32_e32 v22, 16, v92
	v_mul_f16_sdwa v25, v92, v32 dst_sel:DWORD dst_unused:UNUSED_PAD src0_sel:DWORD src1_sel:WORD_1
	v_mul_f16_sdwa v24, v22, v32 dst_sel:DWORD dst_unused:UNUSED_PAD src0_sel:DWORD src1_sel:WORD_1
	v_fma_f16 v22, v22, v32, v25
	v_lshrrev_b32_e32 v25, 16, v16
	v_mul_f16_sdwa v26, v25, v33 dst_sel:DWORD dst_unused:UNUSED_PAD src0_sel:DWORD src1_sel:WORD_1
	v_fma_f16 v26, v16, v33, -v26
	v_mul_f16_sdwa v16, v16, v33 dst_sel:DWORD dst_unused:UNUSED_PAD src0_sel:DWORD src1_sel:WORD_1
	v_fma_f16 v15, v29, v48, -v15
	v_fma_f16 v16, v25, v33, v16
	v_lshrrev_b32_e32 v25, 16, v173
	v_mul_f16_sdwa v29, v173, v34 dst_sel:DWORD dst_unused:UNUSED_PAD src0_sel:DWORD src1_sel:WORD_1
	v_mul_f16_sdwa v28, v25, v34 dst_sel:DWORD dst_unused:UNUSED_PAD src0_sel:DWORD src1_sel:WORD_1
	v_fma_f16 v25, v25, v34, v29
	v_lshrrev_b32_e32 v29, 16, v18
	v_mul_f16_sdwa v30, v29, v35 dst_sel:DWORD dst_unused:UNUSED_PAD src0_sel:DWORD src1_sel:WORD_1
	v_fma_f16 v30, v18, v35, -v30
	v_mul_f16_sdwa v18, v18, v35 dst_sel:DWORD dst_unused:UNUSED_PAD src0_sel:DWORD src1_sel:WORD_1
	v_fma_f16 v18, v29, v35, v18
	v_lshrrev_b32_e32 v29, 16, v175
	v_mul_f16_sdwa v40, v175, v157 dst_sel:DWORD dst_unused:UNUSED_PAD src0_sel:DWORD src1_sel:WORD_1
	v_fma_f16 v21, v90, v50, -v21
	v_mul_f16_sdwa v39, v29, v157 dst_sel:DWORD dst_unused:UNUSED_PAD src0_sel:DWORD src1_sel:WORD_1
	v_fma_f16 v29, v29, v157, v40
	v_add_f16_e32 v40, v23, v26
	v_add_f16_e32 v41, v20, v30
	v_lshrrev_b32_e32 v42, 16, v27
	v_add_f16_e32 v187, v184, v88
	v_fma_f16 v24, v92, v32, -v24
	v_fma_f16 v40, v40, -0.5, v27
	v_fma_f16 v41, v41, -0.5, v27
	v_add_f16_e32 v27, v27, v20
	v_add_f16_e32 v87, v42, v12
	;; [unrolled: 1-line block ×4, first 2 shown]
	v_fma_f16 v28, v173, v34, -v28
	v_add_f16_e32 v27, v27, v23
	v_add_f16_e32 v87, v87, v14
	;; [unrolled: 1-line block ×4, first 2 shown]
	v_fma_f16 v39, v175, v157, -v39
	v_add_f16_e32 v27, v27, v26
	v_add_f16_e32 v87, v87, v16
	;; [unrolled: 1-line block ×9, first 2 shown]
	v_sub_f16_e32 v43, v20, v23
	v_add_f16_e32 v90, v27, v88
	v_add_f16_e32 v91, v87, v89
	v_sub_f16_e32 v172, v14, v16
	v_sub_f16_e32 v175, v20, v30
	;; [unrolled: 1-line block ×6, first 2 shown]
	v_pack_b32_f16 v90, v90, v91
	v_sub_f16_e32 v91, v12, v18
	v_add_f16_e32 v20, v20, v23
	v_fma_f16 v23, v172, s13, v41
	v_fma_f16 v26, v172, s12, v41
	;; [unrolled: 1-line block ×6, first 2 shown]
	v_add_f16_e32 v26, v12, v18
	v_add_f16_e32 v43, v43, v52
	v_sub_f16_e32 v52, v12, v14
	v_sub_f16_e32 v53, v18, v16
	v_add_f16_e32 v173, v14, v16
	v_fma_f16 v26, v26, -0.5, v42
	v_sub_f16_e32 v12, v14, v12
	v_sub_f16_e32 v14, v16, v18
	v_add_f16_e32 v52, v52, v53
	v_sub_f16_e32 v53, v21, v24
	v_sub_f16_e32 v54, v39, v28
	v_add_f16_e32 v12, v12, v14
	v_fma_f16 v14, v176, s12, v26
	v_fma_f16 v16, v176, s13, v26
	v_add_f16_e32 v53, v53, v54
	v_sub_f16_e32 v54, v19, v22
	v_sub_f16_e32 v55, v29, v25
	v_fma_f16 v14, v175, s14, v14
	v_fma_f16 v16, v175, s6, v16
	v_add_f16_e32 v54, v54, v55
	v_add_f16_e32 v55, v24, v28
	v_fma_f16 v14, v12, s7, v14
	v_fma_f16 v12, v12, s7, v16
	v_add_f16_e32 v16, v21, v39
	v_fma_f16 v55, v55, -0.5, v15
	v_sub_f16_e32 v58, v22, v25
	v_fma_f16 v15, v16, -0.5, v15
	v_sub_f16_e32 v16, v24, v21
	v_sub_f16_e32 v18, v28, v39
	;; [unrolled: 1-line block ×3, first 2 shown]
	v_add_f16_e32 v16, v16, v18
	v_fma_f16 v18, v58, s13, v15
	v_fma_f16 v15, v58, s12, v15
	;; [unrolled: 1-line block ×4, first 2 shown]
	v_add_f16_e32 v59, v22, v25
	v_fma_f16 v18, v16, s7, v18
	v_fma_f16 v15, v16, s7, v15
	v_add_f16_e32 v16, v19, v29
	v_fma_f16 v59, v59, -0.5, v13
	v_sub_f16_e32 v62, v24, v28
	v_fma_f16 v13, v16, -0.5, v13
	v_sub_f16_e32 v16, v22, v19
	v_sub_f16_e32 v19, v25, v29
	;; [unrolled: 1-line block ×3, first 2 shown]
	v_add_f16_e32 v16, v16, v19
	v_fma_f16 v19, v62, s12, v13
	v_fma_f16 v19, v60, s14, v19
	v_fma_f16 v13, v62, s13, v13
	v_fma_f16 v19, v16, s7, v19
	v_fma_f16 v13, v60, s6, v13
	v_fma_f16 v13, v16, s7, v13
	v_mul_f16_e32 v16, 0x3b9c, v19
	v_fma_f16 v61, v60, s13, v59
	v_fma_f16 v16, v18, s7, v16
	v_mul_f16_e32 v18, 0xbb9c, v18
	v_fma_f16 v57, v56, s12, v55
	v_fma_f16 v61, v62, s14, v61
	;; [unrolled: 1-line block ×3, first 2 shown]
	v_mul_f16_e32 v19, 0xb4f2, v15
	v_fma_f16 v57, v58, s6, v57
	v_fma_f16 v61, v54, s7, v61
	v_fma_f16 v174, v173, -0.5, v42
	v_fma_f16 v19, v13, s12, v19
	v_mul_f16_e32 v13, 0xb4f2, v13
	v_fma_f16 v57, v53, s7, v57
	v_mul_f16_e32 v63, 0x38b4, v61
	v_fma_f16 v92, v91, s12, v40
	v_fma_f16 v173, v175, s13, v174
	;; [unrolled: 1-line block ×3, first 2 shown]
	v_add_f16_e32 v15, v23, v16
	v_add_f16_e32 v21, v14, v18
	v_fma_f16 v63, v57, s15, v63
	v_mul_f16_e32 v57, 0xb8b4, v57
	v_fma_f16 v92, v172, s6, v92
	v_fma_f16 v173, v176, s14, v173
	v_pack_b32_f16 v15, v15, v21
	v_add_f16_e32 v21, v20, v19
	v_add_f16_e32 v22, v12, v13
	v_pack_b32_f16 v186, v186, v187
	v_fma_f16 v57, v61, s15, v57
	s_movk_i32 s17, 0x5a
	v_fma_f16 v92, v43, s7, v92
	v_fma_f16 v177, v52, s7, v173
	v_pack_b32_f16 v21, v21, v22
	v_fma_f16 v22, v56, s13, v55
	ds_write2_b32 v169, v178, v186 offset1:9
	v_mad_legacy_u16 v61, v199, s17, v200
	v_add_f16_e32 v173, v92, v63
	v_add_f16_e32 v178, v177, v57
	v_fma_f16 v22, v58, s14, v22
	v_fma_f16 v24, v60, s12, v59
	v_pack_b32_f16 v178, v173, v178
	v_lshlrev_b32_e32 v173, 2, v61
	v_fma_f16 v22, v53, s7, v22
	v_fma_f16 v24, v62, s6, v24
	ds_write2_b32 v173, v15, v21 offset0:18 offset1:27
	v_fma_f16 v15, v91, s13, v40
	v_fma_f16 v21, v175, s12, v174
	;; [unrolled: 1-line block ×3, first 2 shown]
	v_mul_f16_e32 v25, 0xba79, v22
	v_fma_f16 v15, v172, s14, v15
	v_fma_f16 v21, v176, s6, v21
	v_fma_f16 v25, v24, s6, v25
	v_mul_f16_e32 v24, 0xba79, v24
	v_fma_f16 v15, v43, s7, v15
	v_fma_f16 v21, v52, s7, v21
	;; [unrolled: 1-line block ×3, first 2 shown]
	v_sub_f16_e32 v24, v27, v88
	v_sub_f16_e32 v26, v87, v89
	v_add_f16_e32 v27, v15, v25
	v_add_f16_e32 v28, v21, v22
	v_pack_b32_f16 v27, v27, v28
	v_pack_b32_f16 v24, v24, v26
	ds_write2_b32 v173, v27, v24 offset0:36 offset1:45
	v_sub_f16_e32 v24, v92, v63
	v_sub_f16_e32 v16, v23, v16
	;; [unrolled: 1-line block ×4, first 2 shown]
	v_pack_b32_f16 v18, v24, v23
	v_pack_b32_f16 v14, v16, v14
	ds_write2_b32 v173, v18, v14 offset0:54 offset1:63
	v_sub_f16_e32 v14, v20, v19
	v_sub_f16_e32 v15, v15, v25
	;; [unrolled: 1-line block ×4, first 2 shown]
	v_pack_b32_f16 v12, v14, v12
	v_pack_b32_f16 v13, v15, v13
	ds_write2_b32 v173, v12, v13 offset0:72 offset1:81
	v_add_u32_e32 v12, 0xffffffa6, v132
	v_cmp_gt_u16_e32 vcc, s17, v132
	v_cndmask_b32_e32 v24, v12, v132, vcc
	v_mul_i32_i24_e32 v13, 20, v24
	v_mul_hi_i32_i24_e32 v12, 20, v24
	v_add_co_u32_e32 v18, vcc, s2, v13
	v_addc_co_u32_e32 v19, vcc, v17, v12, vcc
	ds_write2_b32 v173, v90, v178 offset1:9
	s_waitcnt lgkmcnt(0)
	s_barrier
	global_load_dwordx4 v[12:15], v[18:19], off offset:348
	global_load_dword v175, v[18:19], off offset:364
	s_movk_i32 s17, 0xb7
	v_mul_lo_u16_sdwa v16, v31, s17 dst_sel:DWORD dst_unused:UNUSED_PAD src0_sel:BYTE_0 src1_sel:DWORD
	v_lshrrev_b16_e32 v183, 14, v16
	v_mul_lo_u16_e32 v16, 0x5a, v183
	s_movk_i32 s17, 0x2d83
	v_sub_u16_e32 v29, v31, v16
	v_mul_u32_u24_sdwa v16, v36, s17 dst_sel:DWORD dst_unused:UNUSED_PAD src0_sel:WORD_0 src1_sel:DWORD
	v_lshrrev_b32_e32 v54, 20, v16
	v_mul_lo_u16_e32 v16, 0x5a, v54
	v_sub_u16_e32 v55, v36, v16
	v_mul_u32_u24_sdwa v16, v37, s17 dst_sel:DWORD dst_unused:UNUSED_PAD src0_sel:WORD_0 src1_sel:DWORD
	v_lshrrev_b32_e32 v52, 20, v16
	v_mul_lo_u16_e32 v16, 0x5a, v52
	;; [unrolled: 4-line block ×3, first 2 shown]
	v_sub_u16_e32 v23, v38, v16
	v_mul_lo_u16_e32 v16, 20, v55
	v_add_co_u32_e32 v25, vcc, s2, v16
	ds_read2_b32 v[56:57], v138 offset0:56 offset1:164
	v_addc_co_u32_e32 v26, vcc, 0, v17, vcc
	v_mul_lo_u16_e32 v16, 20, v53
	ds_read2_b32 v[60:61], v137 offset0:112 offset1:220
	ds_read2_b32 v[62:63], v136 offset1:108
	v_add_co_u32_e32 v27, vcc, s2, v16
	v_addc_co_u32_e32 v28, vcc, 0, v17, vcc
	v_mul_lo_u16_e32 v16, 20, v23
	v_add_co_u32_e32 v58, vcc, s2, v16
	v_addc_co_u32_e32 v59, vcc, 0, v17, vcc
	s_waitcnt lgkmcnt(2)
	v_lshrrev_b32_e32 v16, 16, v56
	s_waitcnt lgkmcnt(1)
	v_lshrrev_b32_e32 v18, 16, v60
	;; [unrolled: 2-line block ×3, first 2 shown]
	v_and_b32_e32 v185, 0xff, v29
	s_movk_i32 s17, 0x59
	v_cmp_lt_u16_e32 vcc, s17, v132
	v_mad_legacy_u16 v54, v54, s16, v55
	v_mad_legacy_u16 v52, v52, s16, v53
	;; [unrolled: 1-line block ×3, first 2 shown]
	s_waitcnt vmcnt(1)
	v_mul_f16_sdwa v17, v56, v13 dst_sel:DWORD dst_unused:UNUSED_PAD src0_sel:DWORD src1_sel:WORD_1
	v_fma_f16 v17, v16, v13, v17
	v_mul_f16_sdwa v19, v60, v15 dst_sel:DWORD dst_unused:UNUSED_PAD src0_sel:DWORD src1_sel:WORD_1
	v_fma_f16 v19, v18, v15, v19
	v_add_f16_e32 v21, v20, v17
	v_mul_f16_sdwa v16, v16, v13 dst_sel:DWORD dst_unused:UNUSED_PAD src0_sel:DWORD src1_sel:WORD_1
	v_add_f16_e32 v181, v21, v19
	v_sub_f16_e32 v182, v17, v19
	v_add_f16_e32 v17, v17, v19
	v_fma_f16 v19, v56, v13, -v16
	v_mul_f16_sdwa v16, v18, v15 dst_sel:DWORD dst_unused:UNUSED_PAD src0_sel:DWORD src1_sel:WORD_1
	v_fma_f16 v184, v17, -0.5, v20
	v_fma_f16 v18, v60, v15, -v16
	v_add_f16_e32 v20, v62, v19
	ds_read2_b32 v[16:17], v121 offset0:48 offset1:156
	v_add_f16_e32 v56, v20, v18
	ds_read2_b32 v[20:21], v124 offset0:104 offset1:212
	v_add_f16_e32 v31, v19, v18
	v_sub_f16_e32 v60, v19, v18
	s_waitcnt lgkmcnt(1)
	v_lshrrev_b32_e32 v36, 16, v17
	v_mul_f16_sdwa v30, v17, v12 dst_sel:DWORD dst_unused:UNUSED_PAD src0_sel:DWORD src1_sel:WORD_1
	ds_read2_b32 v[18:19], v119 offset0:32 offset1:140
	v_fma_f16 v37, v36, v12, v30
	s_waitcnt lgkmcnt(1)
	v_lshrrev_b32_e32 v38, 16, v21
	v_mul_f16_sdwa v30, v21, v14 dst_sel:DWORD dst_unused:UNUSED_PAD src0_sel:DWORD src1_sel:WORD_1
	v_fma_f16 v39, v38, v14, v30
	v_mad_u64_u32 v[29:30], s[18:19], v185, 20, s[2:3]
	s_waitcnt lgkmcnt(0)
	v_lshrrev_b32_e32 v87, 16, v19
	s_waitcnt vmcnt(0)
	v_mul_f16_sdwa v40, v19, v175 dst_sel:DWORD dst_unused:UNUSED_PAD src0_sel:DWORD src1_sel:WORD_1
	v_fma_f16 v88, v87, v175, v40
	global_load_dword v177, v[29:30], off offset:364
	global_load_dwordx4 v[40:43], v[29:30], off offset:348
	v_add_f16_e32 v29, v39, v88
	v_fma_f16 v190, v29, -0.5, v37
	v_mul_f16_sdwa v29, v36, v12 dst_sel:DWORD dst_unused:UNUSED_PAD src0_sel:DWORD src1_sel:WORD_1
	v_fma_f16 v17, v17, v12, -v29
	v_mul_f16_sdwa v29, v38, v14 dst_sel:DWORD dst_unused:UNUSED_PAD src0_sel:DWORD src1_sel:WORD_1
	v_fma_f16 v21, v21, v14, -v29
	;; [unrolled: 2-line block ×3, first 2 shown]
	v_add_f16_e32 v29, v21, v19
	v_fma_f16 v197, v29, -0.5, v17
	v_add_f16_e32 v17, v17, v21
	v_add_f16_e32 v17, v17, v19
	v_sub_f16_e32 v19, v21, v19
	v_sub_f16_e32 v187, v39, v88
	v_fma_f16 v29, v19, s1, v190
	v_fma_f16 v21, v187, s0, v197
	v_mul_f16_e32 v30, 0x3aee, v29
	v_fma_f16 v198, v21, 0.5, v30
	v_mul_f16_e32 v21, 0xbaee, v21
	v_add_f16_e32 v89, v37, v39
	v_fma_f16 v21, v29, 0.5, v21
	v_mov_b32_e32 v29, 0x21c
	v_add_f16_e32 v186, v89, v88
	v_cndmask_b32_e32 v29, 0, v29, vcc
	v_fma_f16 v62, v31, -0.5, v62
	v_add_lshl_u32 v180, v24, v29, 2
	v_add_f16_e32 v24, v56, v17
	v_add_f16_e32 v29, v181, v186
	v_fma_f16 v200, v182, s0, v62
	v_fma_f16 v201, v60, s1, v184
	v_pack_b32_f16 v199, v24, v29
	v_add_f16_e32 v24, v200, v198
	v_add_f16_e32 v29, v201, v21
	v_pack_b32_f16 v202, v24, v29
	global_load_dword v176, v[25:26], off offset:364
	global_load_dwordx4 v[36:39], v[25:26], off offset:348
	global_load_dword v174, v[27:28], off offset:364
	s_nop 0
	global_load_dwordx4 v[28:31], v[27:28], off offset:348
	s_nop 0
	global_load_dword v172, v[58:59], off offset:364
	global_load_dwordx4 v[24:27], v[58:59], off offset:348
	v_fma_f16 v62, v182, s1, v62
	v_fma_f16 v182, v187, s1, v197
	;; [unrolled: 1-line block ×4, first 2 shown]
	v_mul_f16_e32 v184, -0.5, v182
	v_fma_f16 v184, v19, s0, v184
	v_mul_f16_e32 v19, -0.5, v19
	v_fma_f16 v19, v182, s1, v19
	v_sub_f16_e32 v17, v56, v17
	v_sub_f16_e32 v56, v181, v186
	v_add_f16_e32 v181, v62, v184
	v_add_f16_e32 v182, v60, v19
	v_pack_b32_f16 v182, v181, v182
	v_pack_b32_f16 v17, v17, v56
	v_add_u32_e32 v181, 0x200, v180
	ds_read2_b32 v[58:59], v111 offset0:136 offset1:244
	ds_read2_b32 v[87:88], v115 offset0:64 offset1:172
	;; [unrolled: 1-line block ×9, first 2 shown]
	s_waitcnt vmcnt(0) lgkmcnt(0)
	s_barrier
	ds_write2_b32 v181, v182, v17 offset0:52 offset1:142
	v_sub_f16_e32 v17, v200, v198
	v_sub_f16_e32 v56, v62, v184
	;; [unrolled: 1-line block ×4, first 2 shown]
	v_pack_b32_f16 v17, v17, v21
	v_pack_b32_f16 v19, v56, v19
	v_add_u32_e32 v182, 0x400, v180
	ds_write2_b32 v182, v17, v19 offset0:104 offset1:194
	v_lshrrev_b32_e32 v17, 16, v57
	v_lshrrev_b32_e32 v60, 16, v63
	;; [unrolled: 1-line block ×3, first 2 shown]
	ds_write2_b32 v180, v199, v202 offset1:90
	v_mul_f16_sdwa v187, v89, v177 dst_sel:DWORD dst_unused:UNUSED_PAD src0_sel:DWORD src1_sel:WORD_1
	v_mul_f16_sdwa v21, v57, v41 dst_sel:DWORD dst_unused:UNUSED_PAD src0_sel:DWORD src1_sel:WORD_1
	;; [unrolled: 1-line block ×3, first 2 shown]
	v_fma_f16 v17, v17, v41, v21
	v_lshrrev_b32_e32 v21, 16, v61
	v_mul_f16_sdwa v56, v21, v43 dst_sel:DWORD dst_unused:UNUSED_PAD src0_sel:DWORD src1_sel:WORD_1
	v_fma_f16 v19, v57, v41, -v19
	v_fma_f16 v56, v61, v43, -v56
	v_mul_f16_sdwa v57, v61, v43 dst_sel:DWORD dst_unused:UNUSED_PAD src0_sel:DWORD src1_sel:WORD_1
	v_fma_f16 v21, v21, v43, v57
	v_add_f16_e32 v57, v19, v56
	v_fma_f16 v57, v57, -0.5, v63
	v_add_f16_e32 v61, v63, v19
	v_add_f16_e32 v62, v60, v17
	v_sub_f16_e32 v63, v17, v21
	v_add_f16_e32 v17, v17, v21
	v_add_f16_e32 v62, v62, v21
	v_fma_f16 v17, v17, -0.5, v60
	v_add_f16_e32 v21, v61, v56
	v_sub_f16_e32 v19, v19, v56
	v_lshrrev_b32_e32 v56, 16, v58
	v_mul_f16_sdwa v60, v58, v40 dst_sel:DWORD dst_unused:UNUSED_PAD src0_sel:DWORD src1_sel:WORD_1
	v_fma_f16 v60, v56, v40, v60
	v_lshrrev_b32_e32 v61, 16, v87
	v_mul_f16_sdwa v184, v87, v42 dst_sel:DWORD dst_unused:UNUSED_PAD src0_sel:DWORD src1_sel:WORD_1
	v_mul_f16_sdwa v56, v56, v40 dst_sel:DWORD dst_unused:UNUSED_PAD src0_sel:DWORD src1_sel:WORD_1
	v_fma_f16 v184, v61, v42, v184
	v_fma_f16 v56, v58, v40, -v56
	v_mul_f16_sdwa v58, v61, v42 dst_sel:DWORD dst_unused:UNUSED_PAD src0_sel:DWORD src1_sel:WORD_1
	v_mul_f16_sdwa v61, v186, v177 dst_sel:DWORD dst_unused:UNUSED_PAD src0_sel:DWORD src1_sel:WORD_1
	v_fma_f16 v187, v186, v177, v187
	v_fma_f16 v58, v87, v42, -v58
	v_fma_f16 v61, v89, v177, -v61
	v_add_f16_e32 v190, v60, v184
	v_sub_f16_e32 v197, v184, v187
	v_add_f16_e32 v184, v184, v187
	v_add_f16_e32 v87, v58, v61
	v_fma_f16 v60, v184, -0.5, v60
	v_fma_f16 v87, v87, -0.5, v56
	v_add_f16_e32 v56, v56, v58
	v_sub_f16_e32 v58, v58, v61
	v_fma_f16 v89, v58, s1, v60
	v_add_f16_e32 v56, v56, v61
	v_fma_f16 v61, v197, s0, v87
	v_mul_f16_e32 v184, 0x3aee, v89
	v_add_f16_e32 v190, v190, v187
	v_fma_f16 v186, v61, 0.5, v184
	v_mul_f16_e32 v61, 0xbaee, v61
	v_fma_f16 v187, v19, s1, v17
	v_fma_f16 v17, v19, s0, v17
	;; [unrolled: 1-line block ×3, first 2 shown]
	v_fma_f16 v61, v89, 0.5, v61
	v_mul_u32_u24_e32 v89, 0x21c, v183
	v_fma_f16 v58, v58, s0, v60
	v_mul_f16_e32 v60, -0.5, v19
	v_add_lshl_u32 v183, v89, v185, 2
	v_add_f16_e32 v89, v21, v56
	v_add_f16_e32 v184, v62, v190
	v_fma_f16 v185, v63, s0, v57
	v_fma_f16 v60, v58, s0, v60
	v_mul_f16_e32 v58, -0.5, v58
	v_pack_b32_f16 v89, v89, v184
	v_add_f16_e32 v184, v185, v186
	v_add_f16_e32 v198, v187, v61
	v_fma_f16 v57, v63, s1, v57
	v_fma_f16 v19, v19, s1, v58
	v_pack_b32_f16 v184, v184, v198
	v_sub_f16_e32 v21, v21, v56
	v_sub_f16_e32 v56, v62, v190
	v_add_f16_e32 v58, v57, v60
	v_add_f16_e32 v62, v17, v19
	ds_write2_b32 v183, v89, v184 offset1:90
	v_pack_b32_f16 v58, v58, v62
	v_pack_b32_f16 v21, v21, v56
	v_add_u32_e32 v184, 0x200, v183
	ds_write2_b32 v184, v58, v21 offset0:52 offset1:142
	v_sub_f16_e32 v21, v185, v186
	v_sub_f16_e32 v56, v57, v60
	v_sub_f16_e32 v57, v187, v61
	v_sub_f16_e32 v17, v17, v19
	v_pack_b32_f16 v19, v21, v57
	v_pack_b32_f16 v17, v56, v17
	v_add_u32_e32 v185, 0x400, v183
	ds_write2_b32 v185, v19, v17 offset0:104 offset1:194
	v_lshrrev_b32_e32 v17, 16, v59
	v_mul_f16_sdwa v21, v59, v36 dst_sel:DWORD dst_unused:UNUSED_PAD src0_sel:DWORD src1_sel:WORD_1
	v_mul_f16_sdwa v19, v17, v36 dst_sel:DWORD dst_unused:UNUSED_PAD src0_sel:DWORD src1_sel:WORD_1
	v_fma_f16 v17, v17, v36, v21
	v_lshrrev_b32_e32 v21, 16, v88
	v_mul_f16_sdwa v57, v88, v38 dst_sel:DWORD dst_unused:UNUSED_PAD src0_sel:DWORD src1_sel:WORD_1
	v_fma_f16 v19, v59, v36, -v19
	v_mul_f16_sdwa v56, v21, v38 dst_sel:DWORD dst_unused:UNUSED_PAD src0_sel:DWORD src1_sel:WORD_1
	v_fma_f16 v21, v21, v38, v57
	v_lshrrev_b32_e32 v57, 16, v90
	v_mul_f16_sdwa v59, v90, v176 dst_sel:DWORD dst_unused:UNUSED_PAD src0_sel:DWORD src1_sel:WORD_1
	v_mul_f16_sdwa v58, v57, v176 dst_sel:DWORD dst_unused:UNUSED_PAD src0_sel:DWORD src1_sel:WORD_1
	v_fma_f16 v57, v57, v176, v59
	v_lshrrev_b32_e32 v59, 16, v178
	v_mul_f16_sdwa v60, v178, v37 dst_sel:DWORD dst_unused:UNUSED_PAD src0_sel:DWORD src1_sel:WORD_1
	v_fma_f16 v60, v59, v37, v60
	v_lshrrev_b32_e32 v61, 16, v188
	v_mul_f16_sdwa v62, v188, v39 dst_sel:DWORD dst_unused:UNUSED_PAD src0_sel:DWORD src1_sel:WORD_1
	v_lshrrev_b32_e32 v63, 16, v91
	v_mul_f16_sdwa v59, v59, v37 dst_sel:DWORD dst_unused:UNUSED_PAD src0_sel:DWORD src1_sel:WORD_1
	v_fma_f16 v62, v61, v39, v62
	v_add_f16_e32 v87, v63, v60
	v_fma_f16 v59, v178, v37, -v59
	v_mul_f16_sdwa v61, v61, v39 dst_sel:DWORD dst_unused:UNUSED_PAD src0_sel:DWORD src1_sel:WORD_1
	v_fma_f16 v56, v88, v38, -v56
	v_add_f16_e32 v87, v87, v62
	v_sub_f16_e32 v88, v60, v62
	v_add_f16_e32 v60, v60, v62
	v_fma_f16 v61, v188, v39, -v61
	v_add_f16_e32 v62, v91, v59
	v_fma_f16 v58, v90, v176, -v58
	v_fma_f16 v60, v60, -0.5, v63
	v_add_f16_e32 v62, v62, v61
	v_add_f16_e32 v63, v59, v61
	v_sub_f16_e32 v59, v59, v61
	v_add_f16_e32 v61, v17, v21
	v_sub_f16_e32 v89, v21, v57
	v_add_f16_e32 v21, v21, v57
	v_fma_f16 v17, v21, -0.5, v17
	v_add_f16_e32 v21, v56, v58
	v_fma_f16 v21, v21, -0.5, v19
	v_add_f16_e32 v19, v19, v56
	v_sub_f16_e32 v56, v56, v58
	v_add_f16_e32 v19, v19, v58
	v_fma_f16 v58, v56, s1, v17
	v_add_f16_e32 v61, v61, v57
	v_fma_f16 v57, v89, s0, v21
	v_mul_f16_e32 v90, 0x3aee, v58
	v_fma_f16 v90, v57, 0.5, v90
	v_mul_f16_e32 v57, 0xbaee, v57
	v_fma_f16 v57, v58, 0.5, v57
	v_add_f16_e32 v55, v62, v19
	v_add_f16_e32 v58, v87, v61
	v_pack_b32_f16 v55, v55, v58
	v_fma_f16 v58, v63, -0.5, v91
	v_fma_f16 v63, v88, s0, v58
	v_fma_f16 v91, v59, s1, v60
	v_fma_f16 v21, v89, s1, v21
	v_add_f16_e32 v178, v63, v90
	v_add_f16_e32 v186, v91, v57
	v_fma_f16 v17, v56, s0, v17
	v_mul_f16_e32 v56, -0.5, v21
	v_pack_b32_f16 v178, v178, v186
	v_lshlrev_b32_e32 v186, 2, v54
	v_fma_f16 v56, v17, s0, v56
	v_mul_f16_e32 v17, -0.5, v17
	ds_write2_b32 v186, v55, v178 offset1:90
	v_fma_f16 v54, v88, s1, v58
	v_fma_f16 v55, v59, s0, v60
	v_fma_f16 v17, v21, s1, v17
	v_sub_f16_e32 v19, v62, v19
	v_sub_f16_e32 v21, v87, v61
	v_add_f16_e32 v58, v54, v56
	v_add_f16_e32 v59, v55, v17
	v_pack_b32_f16 v58, v58, v59
	v_pack_b32_f16 v19, v19, v21
	v_add_u32_e32 v187, 0x200, v186
	ds_write2_b32 v187, v58, v19 offset0:52 offset1:142
	v_sub_f16_e32 v19, v63, v90
	v_sub_f16_e32 v21, v54, v56
	v_sub_f16_e32 v54, v91, v57
	v_sub_f16_e32 v17, v55, v17
	v_pack_b32_f16 v19, v19, v54
	v_pack_b32_f16 v17, v21, v17
	v_add_u32_e32 v188, 0x400, v186
	ds_write2_b32 v188, v19, v17 offset0:104 offset1:194
	v_lshrrev_b32_e32 v17, 16, v179
	v_mul_f16_sdwa v21, v179, v29 dst_sel:DWORD dst_unused:UNUSED_PAD src0_sel:DWORD src1_sel:WORD_1
	v_mul_f16_sdwa v19, v17, v29 dst_sel:DWORD dst_unused:UNUSED_PAD src0_sel:DWORD src1_sel:WORD_1
	v_fma_f16 v17, v17, v29, v21
	v_lshrrev_b32_e32 v21, 16, v189
	v_mul_f16_sdwa v55, v189, v31 dst_sel:DWORD dst_unused:UNUSED_PAD src0_sel:DWORD src1_sel:WORD_1
	v_fma_f16 v19, v179, v29, -v19
	v_mul_f16_sdwa v54, v21, v31 dst_sel:DWORD dst_unused:UNUSED_PAD src0_sel:DWORD src1_sel:WORD_1
	v_fma_f16 v21, v21, v31, v55
	v_lshrrev_b32_e32 v56, 16, v92
	v_fma_f16 v54, v189, v31, -v54
	v_add_f16_e32 v57, v92, v19
	v_add_f16_e32 v58, v56, v17
	v_sub_f16_e32 v59, v17, v21
	v_add_f16_e32 v17, v17, v21
	v_add_f16_e32 v55, v19, v54
	;; [unrolled: 1-line block ×3, first 2 shown]
	v_fma_f16 v17, v17, -0.5, v56
	v_add_f16_e32 v21, v57, v54
	v_sub_f16_e32 v19, v19, v54
	v_lshrrev_b32_e32 v54, 16, v191
	v_mul_f16_sdwa v56, v191, v28 dst_sel:DWORD dst_unused:UNUSED_PAD src0_sel:DWORD src1_sel:WORD_1
	v_lshrrev_b32_e32 v57, 16, v193
	v_mul_f16_sdwa v60, v193, v30 dst_sel:DWORD dst_unused:UNUSED_PAD src0_sel:DWORD src1_sel:WORD_1
	;; [unrolled: 2-line block ×3, first 2 shown]
	v_fma_f16 v56, v54, v28, v56
	v_fma_f16 v60, v57, v30, v60
	;; [unrolled: 1-line block ×3, first 2 shown]
	v_add_f16_e32 v63, v56, v60
	v_sub_f16_e32 v87, v60, v62
	v_add_f16_e32 v60, v60, v62
	v_fma_f16 v56, v60, -0.5, v56
	v_mul_f16_sdwa v57, v57, v30 dst_sel:DWORD dst_unused:UNUSED_PAD src0_sel:DWORD src1_sel:WORD_1
	v_mul_f16_sdwa v60, v61, v174 dst_sel:DWORD dst_unused:UNUSED_PAD src0_sel:DWORD src1_sel:WORD_1
	;; [unrolled: 1-line block ×3, first 2 shown]
	v_fma_f16 v57, v193, v30, -v57
	v_fma_f16 v60, v195, v174, -v60
	;; [unrolled: 1-line block ×3, first 2 shown]
	v_add_f16_e32 v61, v57, v60
	v_fma_f16 v61, v61, -0.5, v54
	v_add_f16_e32 v54, v54, v57
	v_sub_f16_e32 v57, v57, v60
	v_add_f16_e32 v63, v63, v62
	v_fma_f16 v62, v57, s1, v56
	v_add_f16_e32 v54, v54, v60
	v_fma_f16 v60, v87, s0, v61
	v_mul_f16_e32 v88, 0x3aee, v62
	v_fma_f16 v88, v60, 0.5, v88
	v_mul_f16_e32 v60, 0xbaee, v60
	v_fma_f16 v55, v55, -0.5, v92
	v_fma_f16 v60, v62, 0.5, v60
	v_add_f16_e32 v53, v21, v54
	v_add_f16_e32 v62, v58, v63
	v_pack_b32_f16 v53, v53, v62
	v_fma_f16 v62, v59, s0, v55
	v_fma_f16 v89, v19, s1, v17
	v_add_f16_e32 v90, v62, v88
	v_add_f16_e32 v91, v89, v60
	v_pack_b32_f16 v90, v90, v91
	v_lshlrev_b32_e32 v189, 2, v52
	v_fma_f16 v17, v19, s0, v17
	v_fma_f16 v19, v87, s1, v61
	ds_write2_b32 v189, v53, v90 offset1:90
	v_fma_f16 v52, v59, s1, v55
	v_fma_f16 v53, v57, s0, v56
	v_mul_f16_e32 v55, -0.5, v19
	v_fma_f16 v55, v53, s0, v55
	v_mul_f16_e32 v53, -0.5, v53
	v_fma_f16 v19, v19, s1, v53
	v_sub_f16_e32 v21, v21, v54
	v_sub_f16_e32 v53, v58, v63
	v_add_f16_e32 v54, v52, v55
	v_add_f16_e32 v56, v17, v19
	v_pack_b32_f16 v54, v54, v56
	v_pack_b32_f16 v21, v21, v53
	v_add_u32_e32 v190, 0x200, v189
	ds_write2_b32 v190, v54, v21 offset0:52 offset1:142
	v_sub_f16_e32 v21, v62, v88
	v_sub_f16_e32 v52, v52, v55
	v_sub_f16_e32 v53, v89, v60
	v_sub_f16_e32 v17, v17, v19
	v_pack_b32_f16 v19, v21, v53
	v_pack_b32_f16 v17, v52, v17
	v_add_u32_e32 v191, 0x400, v189
	ds_write2_b32 v191, v19, v17 offset0:104 offset1:194
	v_lshrrev_b32_e32 v17, 16, v192
	v_mul_f16_sdwa v21, v192, v24 dst_sel:DWORD dst_unused:UNUSED_PAD src0_sel:DWORD src1_sel:WORD_1
	v_mul_f16_sdwa v19, v17, v24 dst_sel:DWORD dst_unused:UNUSED_PAD src0_sel:DWORD src1_sel:WORD_1
	v_fma_f16 v17, v17, v24, v21
	v_lshrrev_b32_e32 v21, 16, v20
	v_mul_f16_sdwa v52, v21, v25 dst_sel:DWORD dst_unused:UNUSED_PAD src0_sel:DWORD src1_sel:WORD_1
	v_fma_f16 v52, v20, v25, -v52
	v_mul_f16_sdwa v20, v20, v25 dst_sel:DWORD dst_unused:UNUSED_PAD src0_sel:DWORD src1_sel:WORD_1
	v_fma_f16 v20, v21, v25, v20
	v_lshrrev_b32_e32 v21, 16, v194
	v_mul_f16_sdwa v54, v194, v26 dst_sel:DWORD dst_unused:UNUSED_PAD src0_sel:DWORD src1_sel:WORD_1
	v_mul_f16_sdwa v53, v21, v26 dst_sel:DWORD dst_unused:UNUSED_PAD src0_sel:DWORD src1_sel:WORD_1
	v_fma_f16 v21, v21, v26, v54
	v_lshrrev_b32_e32 v54, 16, v18
	v_mul_f16_sdwa v55, v54, v27 dst_sel:DWORD dst_unused:UNUSED_PAD src0_sel:DWORD src1_sel:WORD_1
	v_fma_f16 v55, v18, v27, -v55
	v_mul_f16_sdwa v18, v18, v27 dst_sel:DWORD dst_unused:UNUSED_PAD src0_sel:DWORD src1_sel:WORD_1
	v_fma_f16 v18, v54, v27, v18
	v_lshrrev_b32_e32 v54, 16, v196
	v_mul_f16_sdwa v57, v196, v172 dst_sel:DWORD dst_unused:UNUSED_PAD src0_sel:DWORD src1_sel:WORD_1
	v_mul_f16_sdwa v56, v54, v172 dst_sel:DWORD dst_unused:UNUSED_PAD src0_sel:DWORD src1_sel:WORD_1
	v_fma_f16 v54, v54, v172, v57
	v_add_f16_e32 v57, v52, v55
	v_lshrrev_b32_e32 v58, 16, v16
	v_fma_f16 v57, v57, -0.5, v16
	v_add_f16_e32 v16, v16, v52
	v_add_f16_e32 v59, v58, v20
	v_fma_f16 v53, v194, v26, -v53
	v_fma_f16 v56, v196, v172, -v56
	v_add_f16_e32 v59, v59, v18
	v_sub_f16_e32 v60, v20, v18
	v_add_f16_e32 v18, v20, v18
	v_add_f16_e32 v16, v16, v55
	v_sub_f16_e32 v20, v52, v55
	v_add_f16_e32 v52, v17, v21
	v_sub_f16_e32 v55, v21, v54
	v_add_f16_e32 v21, v21, v54
	v_fma_f16 v19, v192, v24, -v19
	v_fma_f16 v17, v21, -0.5, v17
	v_add_f16_e32 v21, v53, v56
	v_fma_f16 v21, v21, -0.5, v19
	v_add_f16_e32 v19, v19, v53
	v_sub_f16_e32 v53, v53, v56
	v_add_f16_e32 v19, v19, v56
	v_fma_f16 v56, v53, s1, v17
	v_fma_f16 v18, v18, -0.5, v58
	v_add_f16_e32 v52, v52, v54
	v_fma_f16 v54, v55, s0, v21
	v_mul_f16_e32 v58, 0x3aee, v56
	v_fma_f16 v58, v54, 0.5, v58
	v_mul_f16_e32 v54, 0xbaee, v54
	v_fma_f16 v54, v56, 0.5, v54
	v_add_f16_e32 v23, v16, v19
	v_add_f16_e32 v56, v59, v52
	v_fma_f16 v61, v20, s1, v18
	v_fma_f16 v18, v20, s0, v18
	;; [unrolled: 1-line block ×3, first 2 shown]
	v_pack_b32_f16 v23, v23, v56
	v_fma_f16 v56, v60, s0, v57
	v_fma_f16 v17, v53, s0, v17
	v_mul_f16_e32 v21, -0.5, v20
	v_add_f16_e32 v62, v56, v58
	v_add_f16_e32 v63, v61, v54
	v_fma_f16 v21, v17, s0, v21
	v_mul_f16_e32 v17, -0.5, v17
	v_pack_b32_f16 v62, v62, v63
	v_lshlrev_b32_e32 v192, 2, v22
	v_fma_f16 v22, v60, s1, v57
	v_fma_f16 v17, v20, s1, v17
	ds_write2_b32 v192, v23, v62 offset1:90
	v_sub_f16_e32 v16, v16, v19
	v_sub_f16_e32 v19, v59, v52
	v_add_f16_e32 v20, v22, v21
	v_add_f16_e32 v23, v18, v17
	v_mad_u64_u32 v[52:53], s[2:3], v132, 20, s[2:3]
	v_pack_b32_f16 v20, v20, v23
	v_pack_b32_f16 v16, v16, v19
	v_add_u32_e32 v193, 0x200, v192
	ds_write2_b32 v193, v20, v16 offset0:52 offset1:142
	v_sub_f16_e32 v16, v56, v58
	v_sub_f16_e32 v19, v22, v21
	;; [unrolled: 1-line block ×4, first 2 shown]
	v_pack_b32_f16 v16, v16, v20
	v_pack_b32_f16 v17, v19, v17
	v_add_u32_e32 v194, 0x400, v192
	ds_write2_b32 v194, v16, v17 offset0:104 offset1:194
	s_waitcnt lgkmcnt(0)
	s_barrier
	global_load_dwordx4 v[20:23], v[52:53], off offset:2148
	s_movk_i32 s2, 0x870
	v_add_co_u32_e32 v54, vcc, s2, v52
	v_addc_co_u32_e32 v55, vcc, 0, v53, vcc
	global_load_dwordx4 v[16:19], v[54:55], off offset:2148
	global_load_dword v179, v[52:53], off offset:2164
	global_load_dword v178, v[54:55], off offset:2164
	s_movk_i32 s2, 0x10e0
	v_add_co_u32_e32 v54, vcc, s2, v52
	ds_read2_b32 v[58:59], v138 offset0:56 offset1:164
	v_addc_co_u32_e32 v55, vcc, 0, v53, vcc
	s_movk_i32 s2, 0x1950
	v_add_co_u32_e32 v56, vcc, s2, v52
	v_addc_co_u32_e32 v57, vcc, 0, v53, vcc
	s_movk_i32 s2, 0x21c0
	v_add_co_u32_e32 v60, vcc, s2, v52
	v_addc_co_u32_e32 v61, vcc, 0, v53, vcc
	s_waitcnt lgkmcnt(0)
	v_lshrrev_b32_e32 v52, 16, v58
	ds_read2_b32 v[91:92], v119 offset0:32 offset1:140
	s_movk_i32 s2, 0x4000
	s_mov_b32 s3, 0xba79
	s_waitcnt vmcnt(3)
	v_mul_f16_sdwa v53, v58, v21 dst_sel:DWORD dst_unused:UNUSED_PAD src0_sel:DWORD src1_sel:WORD_1
	v_fma_f16 v62, v52, v21, v53
	v_mul_f16_sdwa v52, v52, v21 dst_sel:DWORD dst_unused:UNUSED_PAD src0_sel:DWORD src1_sel:WORD_1
	v_fma_f16 v63, v58, v21, -v52
	ds_read2_b32 v[52:53], v137 offset0:112 offset1:220
	v_lshrrev_b32_e32 v58, 16, v59
	s_waitcnt vmcnt(2)
	v_mul_f16_sdwa v87, v58, v17 dst_sel:DWORD dst_unused:UNUSED_PAD src0_sel:DWORD src1_sel:WORD_1
	v_fma_f16 v209, v59, v17, -v87
	v_mul_f16_sdwa v59, v59, v17 dst_sel:DWORD dst_unused:UNUSED_PAD src0_sel:DWORD src1_sel:WORD_1
	v_fma_f16 v210, v58, v17, v59
	s_waitcnt lgkmcnt(0)
	v_lshrrev_b32_e32 v58, 16, v52
	v_mul_f16_sdwa v59, v52, v23 dst_sel:DWORD dst_unused:UNUSED_PAD src0_sel:DWORD src1_sel:WORD_1
	v_fma_f16 v87, v58, v23, v59
	v_mul_f16_sdwa v58, v58, v23 dst_sel:DWORD dst_unused:UNUSED_PAD src0_sel:DWORD src1_sel:WORD_1
	v_fma_f16 v52, v52, v23, -v58
	ds_read2_b32 v[58:59], v136 offset1:108
	v_lshrrev_b32_e32 v88, 16, v53
	v_mul_f16_sdwa v89, v88, v19 dst_sel:DWORD dst_unused:UNUSED_PAD src0_sel:DWORD src1_sel:WORD_1
	v_fma_f16 v211, v53, v19, -v89
	v_mul_f16_sdwa v53, v53, v19 dst_sel:DWORD dst_unused:UNUSED_PAD src0_sel:DWORD src1_sel:WORD_1
	v_fma_f16 v212, v88, v19, v53
	v_add_f16_e32 v53, v63, v52
	s_waitcnt lgkmcnt(0)
	v_fma_f16 v53, v53, -0.5, v58
	v_sub_f16_e32 v88, v62, v87
	v_fma_f16 v195, v88, s0, v53
	v_fma_f16 v196, v88, s1, v53
	v_lshrrev_b32_e32 v53, 16, v58
	v_add_f16_e32 v88, v53, v62
	v_add_f16_e32 v197, v88, v87
	v_add_f16_e32 v62, v62, v87
	ds_read2_b32 v[87:88], v121 offset0:48 offset1:156
	ds_read2_b32 v[89:90], v124 offset0:104 offset1:212
	v_add_f16_e32 v58, v58, v63
	v_fma_f16 v53, v62, -0.5, v53
	v_add_f16_e32 v58, v58, v52
	v_sub_f16_e32 v52, v63, v52
	v_fma_f16 v62, v52, s1, v53
	v_fma_f16 v63, v52, s0, v53
	s_waitcnt lgkmcnt(1)
	v_lshrrev_b32_e32 v52, 16, v88
	v_mul_f16_sdwa v53, v88, v20 dst_sel:DWORD dst_unused:UNUSED_PAD src0_sel:DWORD src1_sel:WORD_1
	v_fma_f16 v198, v52, v20, v53
	v_mul_f16_sdwa v52, v52, v20 dst_sel:DWORD dst_unused:UNUSED_PAD src0_sel:DWORD src1_sel:WORD_1
	v_fma_f16 v199, v88, v20, -v52
	s_waitcnt lgkmcnt(0)
	v_lshrrev_b32_e32 v52, 16, v90
	v_mul_f16_sdwa v53, v90, v22 dst_sel:DWORD dst_unused:UNUSED_PAD src0_sel:DWORD src1_sel:WORD_1
	v_fma_f16 v200, v52, v22, v53
	v_mul_f16_sdwa v52, v52, v22 dst_sel:DWORD dst_unused:UNUSED_PAD src0_sel:DWORD src1_sel:WORD_1
	v_fma_f16 v90, v90, v22, -v52
	v_lshrrev_b32_e32 v52, 16, v92
	s_waitcnt vmcnt(1)
	v_mul_f16_sdwa v53, v92, v179 dst_sel:DWORD dst_unused:UNUSED_PAD src0_sel:DWORD src1_sel:WORD_1
	v_fma_f16 v201, v52, v179, v53
	v_mul_f16_sdwa v52, v52, v179 dst_sel:DWORD dst_unused:UNUSED_PAD src0_sel:DWORD src1_sel:WORD_1
	v_fma_f16 v92, v92, v179, -v52
	v_add_f16_e32 v52, v90, v92
	v_fma_f16 v52, v52, -0.5, v199
	v_sub_f16_e32 v53, v200, v201
	v_fma_f16 v202, v53, s0, v52
	v_fma_f16 v203, v53, s1, v52
	global_load_dword v88, v[54:55], off offset:2164
	s_nop 0
	global_load_dwordx4 v[52:55], v[54:55], off offset:2148
	v_add_f16_e32 v204, v198, v200
	v_add_f16_e32 v200, v200, v201
	v_fma_f16 v198, v200, -0.5, v198
	v_add_f16_e32 v199, v199, v90
	v_sub_f16_e32 v90, v90, v92
	v_add_f16_e32 v199, v199, v92
	v_fma_f16 v92, v90, s1, v198
	v_mul_f16_e32 v200, 0xbaee, v202
	v_fma_f16 v90, v90, s0, v198
	v_mul_f16_e32 v198, 0x3aee, v92
	v_fma_f16 v92, v92, 0.5, v200
	v_mul_f16_e32 v200, -0.5, v203
	v_fma_f16 v200, v90, s0, v200
	v_mul_f16_e32 v90, -0.5, v90
	v_fma_f16 v198, v202, 0.5, v198
	v_fma_f16 v90, v203, s1, v90
	v_add_f16_e32 v204, v204, v201
	v_add_f16_e32 v201, v58, v199
	v_sub_f16_e32 v58, v58, v199
	v_add_f16_e32 v199, v195, v198
	v_sub_f16_e32 v213, v195, v198
	v_add_f16_e32 v198, v62, v92
	v_sub_f16_e32 v92, v62, v92
	v_add_f16_e32 v62, v63, v90
	v_sub_f16_e32 v90, v63, v90
	v_add_f16_e32 v63, v209, v211
	v_add_f16_e32 v195, v196, v200
	v_fma_f16 v215, v63, -0.5, v59
	v_lshrrev_b32_e32 v216, 16, v59
	v_add_f16_e32 v217, v59, v209
	v_pack_b32_f16 v59, v199, v198
	v_sub_f16_e32 v214, v196, v200
	ds_write_b32 v136, v59 offset:2160
	v_pack_b32_f16 v59, v195, v62
	v_add_f16_e32 v196, v197, v204
	v_sub_f16_e32 v197, v197, v204
	ds_write_b32 v136, v59 offset:4320
	v_pack_b32_f16 v92, v213, v92
	v_pack_b32_f16 v90, v214, v90
	;; [unrolled: 1-line block ×4, first 2 shown]
	ds_read2_b32 v[58:59], v111 offset0:136 offset1:244
	ds_read2_b32 v[62:63], v115 offset0:64 offset1:172
	;; [unrolled: 1-line block ×9, first 2 shown]
	ds_write_b32 v136, v92 offset:8640
	ds_write_b32 v136, v90 offset:10800
	s_waitcnt lgkmcnt(10)
	v_lshrrev_b32_e32 v90, 16, v58
	v_mul_f16_sdwa v92, v58, v16 dst_sel:DWORD dst_unused:UNUSED_PAD src0_sel:DWORD src1_sel:WORD_1
	v_fma_f16 v92, v90, v16, v92
	v_mul_f16_sdwa v90, v90, v16 dst_sel:DWORD dst_unused:UNUSED_PAD src0_sel:DWORD src1_sel:WORD_1
	v_fma_f16 v58, v58, v16, -v90
	s_waitcnt lgkmcnt(9)
	v_lshrrev_b32_e32 v90, 16, v62
	v_mul_f16_sdwa v213, v62, v18 dst_sel:DWORD dst_unused:UNUSED_PAD src0_sel:DWORD src1_sel:WORD_1
	v_fma_f16 v213, v90, v18, v213
	v_mul_f16_sdwa v90, v90, v18 dst_sel:DWORD dst_unused:UNUSED_PAD src0_sel:DWORD src1_sel:WORD_1
	v_fma_f16 v62, v62, v18, -v90
	s_waitcnt lgkmcnt(8)
	v_lshrrev_b32_e32 v90, 16, v195
	s_waitcnt vmcnt(2)
	v_mul_f16_sdwa v214, v195, v178 dst_sel:DWORD dst_unused:UNUSED_PAD src0_sel:DWORD src1_sel:WORD_1
	v_fma_f16 v214, v90, v178, v214
	v_mul_f16_sdwa v90, v90, v178 dst_sel:DWORD dst_unused:UNUSED_PAD src0_sel:DWORD src1_sel:WORD_1
	ds_write_b32 v136, v219 offset:6480
	v_fma_f16 v90, v195, v178, -v90
	v_add_f16_e32 v195, v217, v211
	v_add_f16_e32 v217, v216, v210
	;; [unrolled: 1-line block ×9, first 2 shown]
	v_pack_b32_f16 v221, v221, v222
	ds_write2_b32 v136, v218, v221 offset1:108
	v_lshrrev_b32_e32 v218, 16, v59
	v_sub_f16_e32 v209, v209, v211
	v_sub_f16_e32 v195, v195, v219
	s_waitcnt vmcnt(0)
	v_mul_f16_sdwa v221, v218, v52 dst_sel:DWORD dst_unused:UNUSED_PAD src0_sel:DWORD src1_sel:WORD_1
	v_fma_f16 v221, v59, v52, -v221
	v_mul_f16_sdwa v59, v59, v52 dst_sel:DWORD dst_unused:UNUSED_PAD src0_sel:DWORD src1_sel:WORD_1
	v_fma_f16 v218, v218, v52, v59
	v_lshrrev_b32_e32 v59, 16, v63
	v_mul_f16_sdwa v222, v59, v54 dst_sel:DWORD dst_unused:UNUSED_PAD src0_sel:DWORD src1_sel:WORD_1
	v_fma_f16 v222, v63, v54, -v222
	v_mul_f16_sdwa v63, v63, v54 dst_sel:DWORD dst_unused:UNUSED_PAD src0_sel:DWORD src1_sel:WORD_1
	v_fma_f16 v63, v59, v54, v63
	v_lshrrev_b32_e32 v59, 16, v196
	v_mul_f16_sdwa v223, v59, v88 dst_sel:DWORD dst_unused:UNUSED_PAD src0_sel:DWORD src1_sel:WORD_1
	v_fma_f16 v223, v196, v88, -v223
	v_mul_f16_sdwa v196, v196, v88 dst_sel:DWORD dst_unused:UNUSED_PAD src0_sel:DWORD src1_sel:WORD_1
	v_fma_f16 v196, v59, v88, v196
	v_sub_f16_e32 v59, v210, v212
	v_fma_f16 v224, v59, s0, v215
	v_fma_f16 v215, v59, s1, v215
	v_add_f16_e32 v59, v210, v212
	v_fma_f16 v59, v59, -0.5, v216
	v_fma_f16 v210, v209, s1, v59
	v_fma_f16 v209, v209, s0, v59
	v_add_f16_e32 v59, v62, v90
	v_fma_f16 v58, v59, -0.5, v58
	v_sub_f16_e32 v59, v213, v214
	v_fma_f16 v211, v59, s0, v58
	v_fma_f16 v212, v59, s1, v58
	v_add_f16_e32 v58, v213, v214
	v_fma_f16 v58, v58, -0.5, v92
	v_sub_f16_e32 v59, v62, v90
	v_fma_f16 v62, v59, s1, v58
	v_fma_f16 v92, v59, s0, v58
	v_mul_f16_e32 v58, 0x3aee, v62
	v_fma_f16 v213, v211, 0.5, v58
	v_mul_f16_e32 v58, 0xbaee, v211
	v_fma_f16 v62, v62, 0.5, v58
	v_mul_f16_e32 v58, -0.5, v212
	v_fma_f16 v211, v92, s0, v58
	global_load_dword v90, v[56:57], off offset:2164
	s_nop 0
	global_load_dwordx4 v[56:59], v[56:57], off offset:2148
	v_add_f16_e32 v216, v63, v196
	v_mul_f16_e32 v92, -0.5, v92
	v_add_f16_e32 v214, v210, v62
	v_sub_f16_e32 v62, v210, v62
	v_add_f16_e32 v210, v222, v223
	v_fma_f16 v216, v216, -0.5, v218
	v_sub_f16_e32 v226, v222, v223
	v_fma_f16 v92, v212, s1, v92
	v_add_f16_e32 v212, v224, v213
	v_sub_f16_e32 v213, v224, v213
	v_fma_f16 v210, v210, -0.5, v221
	v_sub_f16_e32 v224, v63, v196
	v_fma_f16 v227, v226, s1, v216
	v_fma_f16 v225, v224, s0, v210
	v_mul_f16_e32 v228, 0x3aee, v227
	v_fma_f16 v228, v225, 0.5, v228
	v_mul_f16_e32 v225, 0xbaee, v225
	v_pack_b32_f16 v62, v213, v62
	v_fma_f16 v225, v227, 0.5, v225
	v_pack_b32_f16 v212, v212, v214
	v_add_f16_e32 v214, v215, v211
	v_add_f16_e32 v227, v209, v92
	ds_write_b32 v136, v62 offset:9072
	s_waitcnt lgkmcnt(9)
	v_lshrrev_b32_e32 v62, 16, v199
	v_mul_f16_sdwa v213, v199, v53 dst_sel:DWORD dst_unused:UNUSED_PAD src0_sel:DWORD src1_sel:WORD_1
	v_pack_b32_f16 v214, v214, v227
	v_fma_f16 v213, v62, v53, v213
	v_mul_f16_sdwa v62, v62, v53 dst_sel:DWORD dst_unused:UNUSED_PAD src0_sel:DWORD src1_sel:WORD_1
	ds_write_b32 v136, v214 offset:4752
	v_fma_f16 v62, v199, v53, -v62
	s_waitcnt lgkmcnt(9)
	v_lshrrev_b32_e32 v199, 16, v201
	v_mul_f16_sdwa v214, v201, v55 dst_sel:DWORD dst_unused:UNUSED_PAD src0_sel:DWORD src1_sel:WORD_1
	v_fma_f16 v214, v199, v55, v214
	v_mul_f16_sdwa v199, v199, v55 dst_sel:DWORD dst_unused:UNUSED_PAD src0_sel:DWORD src1_sel:WORD_1
	v_fma_f16 v199, v201, v55, -v199
	v_add_f16_e32 v201, v62, v199
	v_lshrrev_b32_e32 v227, 16, v197
	v_add_f16_e32 v229, v213, v214
	v_fma_f16 v201, v201, -0.5, v197
	v_fma_f16 v229, v229, -0.5, v227
	v_sub_f16_e32 v230, v213, v214
	v_sub_f16_e32 v232, v62, v199
	v_add_f16_e32 v62, v197, v62
	v_fma_f16 v231, v230, s0, v201
	v_fma_f16 v233, v232, s1, v229
	v_add_f16_e32 v197, v62, v199
	v_add_f16_e32 v62, v227, v213
	;; [unrolled: 1-line block ×6, first 2 shown]
	v_pack_b32_f16 v234, v234, v235
	v_add_f16_e32 v213, v62, v223
	v_add_f16_e32 v62, v218, v63
	ds_write2_b32 v111, v212, v234 offset0:136 offset1:244
	v_sub_f16_e32 v212, v217, v220
	v_add_f16_e32 v196, v62, v196
	v_pack_b32_f16 v62, v195, v212
	v_sub_f16_e32 v63, v197, v213
	v_sub_f16_e32 v195, v199, v196
	v_pack_b32_f16 v63, v63, v195
	ds_write2_b32 v115, v62, v63 offset0:64 offset1:172
	v_sub_f16_e32 v63, v209, v92
	v_fma_f16 v92, v224, s1, v210
	v_fma_f16 v209, v226, s0, v216
	v_mul_f16_e32 v210, -0.5, v92
	v_fma_f16 v210, v209, s0, v210
	v_mul_f16_e32 v209, -0.5, v209
	v_sub_f16_e32 v62, v215, v211
	v_fma_f16 v195, v230, s1, v201
	v_fma_f16 v201, v232, s0, v229
	v_fma_f16 v209, v92, s1, v209
	v_pack_b32_f16 v62, v62, v63
	v_sub_f16_e32 v63, v195, v210
	v_sub_f16_e32 v92, v201, v209
	v_pack_b32_f16 v63, v63, v92
	ds_write2_b32 v112, v62, v63 offset0:120 offset1:228
	v_lshrrev_b32_e32 v62, 16, v200
	v_lshrrev_b32_e32 v212, 16, v202
	s_waitcnt vmcnt(0)
	v_mul_f16_sdwa v63, v62, v57 dst_sel:DWORD dst_unused:UNUSED_PAD src0_sel:DWORD src1_sel:WORD_1
	v_fma_f16 v211, v200, v57, -v63
	v_mul_f16_sdwa v63, v200, v57 dst_sel:DWORD dst_unused:UNUSED_PAD src0_sel:DWORD src1_sel:WORD_1
	v_fma_f16 v200, v62, v57, v63
	v_mul_f16_sdwa v62, v212, v59 dst_sel:DWORD dst_unused:UNUSED_PAD src0_sel:DWORD src1_sel:WORD_1
	v_fma_f16 v214, v202, v59, -v62
	global_load_dword v92, v[60:61], off offset:2164
	s_nop 0
	global_load_dwordx4 v[60:63], v[60:61], off offset:2148
	v_add_f16_e32 v197, v197, v213
	v_add_f16_e32 v196, v199, v196
	v_pack_b32_f16 v196, v197, v196
	s_waitcnt lgkmcnt(11)
	v_lshrrev_b32_e32 v197, 16, v203
	v_mul_f16_sdwa v213, v203, v56 dst_sel:DWORD dst_unused:UNUSED_PAD src0_sel:DWORD src1_sel:WORD_1
	v_fma_f16 v213, v197, v56, v213
	v_mul_f16_sdwa v197, v197, v56 dst_sel:DWORD dst_unused:UNUSED_PAD src0_sel:DWORD src1_sel:WORD_1
	v_fma_f16 v197, v203, v56, -v197
	s_waitcnt lgkmcnt(10)
	v_lshrrev_b32_e32 v203, 16, v205
	v_mul_f16_sdwa v215, v205, v58 dst_sel:DWORD dst_unused:UNUSED_PAD src0_sel:DWORD src1_sel:WORD_1
	v_fma_f16 v215, v203, v58, v215
	v_mul_f16_sdwa v203, v203, v58 dst_sel:DWORD dst_unused:UNUSED_PAD src0_sel:DWORD src1_sel:WORD_1
	v_mul_f16_sdwa v202, v202, v59 dst_sel:DWORD dst_unused:UNUSED_PAD src0_sel:DWORD src1_sel:WORD_1
	v_fma_f16 v203, v205, v58, -v203
	s_waitcnt lgkmcnt(9)
	v_lshrrev_b32_e32 v205, 16, v207
	v_mul_f16_sdwa v216, v207, v90 dst_sel:DWORD dst_unused:UNUSED_PAD src0_sel:DWORD src1_sel:WORD_1
	v_fma_f16 v202, v212, v59, v202
	v_add_f16_e32 v199, v211, v214
	v_lshrrev_b32_e32 v212, 16, v198
	v_fma_f16 v216, v205, v90, v216
	v_mul_f16_sdwa v205, v205, v90 dst_sel:DWORD dst_unused:UNUSED_PAD src0_sel:DWORD src1_sel:WORD_1
	v_fma_f16 v199, v199, -0.5, v198
	v_add_f16_e32 v198, v198, v211
	v_fma_f16 v205, v207, v90, -v205
	v_add_f16_e32 v207, v212, v200
	v_add_f16_e32 v217, v197, v203
	;; [unrolled: 1-line block ×9, first 2 shown]
	v_pack_b32_f16 v219, v219, v220
	ds_write2_b32 v134, v196, v219 offset0:88 offset1:196
	v_add_f16_e32 v196, v201, v209
	v_add_f16_e32 v209, v203, v205
	v_add_f16_e32 v195, v195, v210
	v_fma_f16 v197, v209, -0.5, v197
	v_sub_f16_e32 v209, v215, v216
	v_add_f16_e32 v210, v215, v216
	v_sub_f16_e32 v201, v200, v202
	v_add_f16_e32 v200, v200, v202
	v_fma_f16 v210, v210, -0.5, v213
	v_sub_f16_e32 v203, v203, v205
	v_fma_f16 v205, v209, s1, v197
	v_fma_f16 v200, v200, -0.5, v212
	v_sub_f16_e32 v202, v211, v214
	v_fma_f16 v211, v203, s0, v210
	v_mul_f16_e32 v212, -0.5, v205
	v_fma_f16 v212, v211, s0, v212
	v_mul_f16_e32 v211, -0.5, v211
	v_pack_b32_f16 v195, v195, v196
	v_fma_f16 v196, v201, s1, v199
	v_fma_f16 v199, v201, s0, v199
	;; [unrolled: 1-line block ×7, first 2 shown]
	v_mul_f16_e32 v202, 0x3aee, v201
	v_fma_f16 v202, v197, 0.5, v202
	v_mul_f16_e32 v197, 0xbaee, v197
	v_add_f16_e32 v213, v196, v212
	v_add_f16_e32 v214, v211, v205
	v_fma_f16 v197, v201, 0.5, v197
	v_sub_f16_e32 v198, v198, v217
	v_sub_f16_e32 v201, v207, v218
	v_pack_b32_f16 v213, v213, v214
	v_pack_b32_f16 v198, v198, v201
	ds_write2_b32 v130, v195, v213 offset0:16 offset1:124
	v_sub_f16_e32 v195, v231, v228
	v_sub_f16_e32 v213, v233, v225
	ds_write_b32 v136, v198 offset:7776
	v_sub_f16_e32 v198, v199, v202
	v_sub_f16_e32 v201, v200, v197
	v_pack_b32_f16 v195, v195, v213
	v_pack_b32_f16 v198, v198, v201
	ds_write2_b32 v133, v195, v198 offset0:72 offset1:180
	v_lshrrev_b32_e32 v195, 16, v204
	s_waitcnt vmcnt(0)
	v_mul_f16_sdwa v201, v204, v60 dst_sel:DWORD dst_unused:UNUSED_PAD src0_sel:DWORD src1_sel:WORD_1
	v_mul_f16_sdwa v198, v195, v60 dst_sel:DWORD dst_unused:UNUSED_PAD src0_sel:DWORD src1_sel:WORD_1
	v_fma_f16 v195, v195, v60, v201
	v_lshrrev_b32_e32 v201, 16, v89
	v_mul_f16_sdwa v203, v201, v61 dst_sel:DWORD dst_unused:UNUSED_PAD src0_sel:DWORD src1_sel:WORD_1
	v_fma_f16 v203, v89, v61, -v203
	v_mul_f16_sdwa v89, v89, v61 dst_sel:DWORD dst_unused:UNUSED_PAD src0_sel:DWORD src1_sel:WORD_1
	v_fma_f16 v89, v201, v61, v89
	v_lshrrev_b32_e32 v201, 16, v206
	v_fma_f16 v198, v204, v60, -v198
	v_mul_f16_sdwa v204, v201, v62 dst_sel:DWORD dst_unused:UNUSED_PAD src0_sel:DWORD src1_sel:WORD_1
	v_fma_f16 v204, v206, v62, -v204
	v_mul_f16_sdwa v206, v206, v62 dst_sel:DWORD dst_unused:UNUSED_PAD src0_sel:DWORD src1_sel:WORD_1
	v_fma_f16 v201, v201, v62, v206
	v_lshrrev_b32_e32 v206, 16, v91
	v_mul_f16_sdwa v207, v206, v63 dst_sel:DWORD dst_unused:UNUSED_PAD src0_sel:DWORD src1_sel:WORD_1
	v_fma_f16 v207, v91, v63, -v207
	v_mul_f16_sdwa v91, v91, v63 dst_sel:DWORD dst_unused:UNUSED_PAD src0_sel:DWORD src1_sel:WORD_1
	v_fma_f16 v91, v206, v63, v91
	v_lshrrev_b32_e32 v206, 16, v208
	v_mul_f16_sdwa v209, v206, v92 dst_sel:DWORD dst_unused:UNUSED_PAD src0_sel:DWORD src1_sel:WORD_1
	v_fma_f16 v209, v208, v92, -v209
	v_mul_f16_sdwa v208, v208, v92 dst_sel:DWORD dst_unused:UNUSED_PAD src0_sel:DWORD src1_sel:WORD_1
	v_add_f16_e32 v197, v200, v197
	v_sub_f16_e32 v200, v211, v205
	v_lshrrev_b32_e32 v205, 16, v87
	v_fma_f16 v206, v206, v92, v208
	v_add_f16_e32 v199, v199, v202
	v_add_f16_e32 v202, v203, v207
	;; [unrolled: 1-line block ×3, first 2 shown]
	v_sub_f16_e32 v210, v89, v91
	v_add_f16_e32 v89, v89, v91
	v_fma_f16 v202, v202, -0.5, v87
	v_add_f16_e32 v87, v87, v203
	v_add_f16_e32 v208, v208, v91
	v_fma_f16 v89, v89, -0.5, v205
	v_sub_f16_e32 v91, v203, v207
	v_add_f16_e32 v203, v195, v201
	v_sub_f16_e32 v205, v201, v206
	v_add_f16_e32 v201, v201, v206
	v_fma_f16 v195, v201, -0.5, v195
	v_add_f16_e32 v201, v204, v209
	v_sub_f16_e32 v196, v196, v212
	v_fma_f16 v201, v201, -0.5, v198
	v_add_f16_e32 v198, v198, v204
	v_sub_f16_e32 v204, v204, v209
	v_add_f16_e32 v87, v87, v207
	v_add_f16_e32 v203, v203, v206
	;; [unrolled: 1-line block ×3, first 2 shown]
	v_fma_f16 v207, v204, s1, v195
	v_pack_b32_f16 v196, v196, v200
	v_fma_f16 v206, v205, s0, v201
	v_mul_f16_e32 v209, 0x3aee, v207
	v_pack_b32_f16 v197, v199, v197
	ds_write_b32 v136, v196 offset:12096
	v_add_f16_e32 v196, v87, v198
	v_add_f16_e32 v199, v208, v203
	v_fma_f16 v209, v206, 0.5, v209
	v_mul_f16_e32 v206, 0xbaee, v206
	v_pack_b32_f16 v196, v196, v199
	v_fma_f16 v206, v207, 0.5, v206
	ds_write_b32 v136, v196 offset:1728
	v_fma_f16 v196, v210, s0, v202
	v_fma_f16 v199, v91, s1, v89
	v_add_f16_e32 v200, v196, v209
	v_add_f16_e32 v207, v199, v206
	v_pack_b32_f16 v200, v200, v207
	v_fma_f16 v89, v91, s0, v89
	v_fma_f16 v91, v205, s1, v201
	ds_write2_b32 v102, v197, v200 offset0:96 offset1:204
	v_fma_f16 v195, v204, s0, v195
	v_mul_f16_e32 v200, -0.5, v91
	v_fma_f16 v200, v195, s0, v200
	v_mul_f16_e32 v195, -0.5, v195
	v_sub_f16_e32 v87, v87, v198
	v_sub_f16_e32 v198, v208, v203
	v_fma_f16 v197, v210, s1, v202
	v_fma_f16 v91, v91, s1, v195
	v_sub_f16_e32 v195, v196, v209
	v_sub_f16_e32 v199, v199, v206
	v_pack_b32_f16 v87, v87, v198
	v_add_f16_e32 v196, v197, v200
	v_sub_f16_e32 v197, v197, v200
	v_add_f16_e32 v200, v89, v91
	v_sub_f16_e32 v89, v89, v91
	ds_write_b32 v136, v87 offset:8208
	v_pack_b32_f16 v87, v195, v199
	v_pack_b32_f16 v91, v196, v200
	ds_write_b32 v136, v87 offset:10368
	v_pack_b32_f16 v87, v197, v89
	ds_write_b32 v136, v91 offset:6048
	ds_write_b32 v136, v87 offset:12528
	s_waitcnt lgkmcnt(0)
	s_barrier
	global_load_dword v87, v[85:86], off offset:672
	v_add_co_u32_e32 v85, vcc, s2, v139
	v_addc_co_u32_e32 v86, vcc, 0, v140, vcc
	global_load_dword v89, v[85:86], off offset:1328
	global_load_dword v91, v[85:86], off offset:1760
	s_movk_i32 s2, 0x5000
	v_add_co_u32_e32 v195, vcc, s2, v139
	v_addc_co_u32_e32 v196, vcc, 0, v140, vcc
	global_load_dword v204, v[195:196], off offset:1552
	global_load_dword v205, v[195:196], off offset:1984
	s_movk_i32 s2, 0x32a0
	v_add_co_u32_e32 v197, vcc, s2, v139
	v_addc_co_u32_e32 v198, vcc, 0, v140, vcc
	global_load_dword v207, v[197:198], off offset:1296
	global_load_dword v208, v[197:198], off offset:1728
	ds_read2_b32 v[199:200], v136 offset1:108
	global_load_dword v209, v[195:196], off offset:2416
	global_load_dword v210, v[197:198], off offset:432
	;; [unrolled: 1-line block ×7, first 2 shown]
	s_movk_i32 s2, 0x6000
	s_waitcnt lgkmcnt(0)
	v_lshrrev_b32_e32 v201, 16, v199
	v_add_co_u32_e32 v139, vcc, s2, v139
	v_addc_co_u32_e32 v140, vcc, 0, v140, vcc
	s_mov_b32 s2, 0xffff
	s_waitcnt vmcnt(13)
	v_mul_f16_sdwa v202, v199, v87 dst_sel:DWORD dst_unused:UNUSED_PAD src0_sel:DWORD src1_sel:WORD_1
	v_fma_f16 v202, v201, v87, v202
	v_mul_f16_sdwa v201, v201, v87 dst_sel:DWORD dst_unused:UNUSED_PAD src0_sel:DWORD src1_sel:WORD_1
	v_fma_f16 v87, v199, v87, -v201
	v_pack_b32_f16 v87, v87, v202
	ds_write_b32 v136, v87
	ds_read2_b32 v[201:202], v138 offset0:56 offset1:164
	global_load_dword v87, v[85:86], off offset:2192
	global_load_dword v199, v[85:86], off offset:2624
	;; [unrolled: 1-line block ×7, first 2 shown]
	ds_read2_b32 v[197:198], v130 offset0:16 offset1:124
	s_waitcnt lgkmcnt(1)
	v_lshrrev_b32_e32 v203, 16, v202
	s_waitcnt vmcnt(19)
	v_mul_f16_sdwa v206, v202, v89 dst_sel:DWORD dst_unused:UNUSED_PAD src0_sel:DWORD src1_sel:WORD_1
	v_fma_f16 v206, v203, v89, v206
	v_mul_f16_sdwa v203, v203, v89 dst_sel:DWORD dst_unused:UNUSED_PAD src0_sel:DWORD src1_sel:WORD_1
	v_fma_f16 v89, v202, v89, -v203
	v_pack_b32_f16 v89, v89, v206
	s_waitcnt lgkmcnt(0)
	v_lshrrev_b32_e32 v206, 16, v197
	s_waitcnt vmcnt(18)
	v_mul_f16_sdwa v202, v197, v91 dst_sel:DWORD dst_unused:UNUSED_PAD src0_sel:DWORD src1_sel:WORD_1
	v_fma_f16 v221, v206, v91, v202
	v_mul_f16_sdwa v206, v206, v91 dst_sel:DWORD dst_unused:UNUSED_PAD src0_sel:DWORD src1_sel:WORD_1
	ds_read2_b32 v[202:203], v137 offset0:112 offset1:220
	v_fma_f16 v91, v197, v91, -v206
	v_pack_b32_f16 v91, v91, v221
	ds_write2_b32 v143, v89, v91 offset0:36 offset1:144
	global_load_dword v91, v[85:86], off offset:3920
	global_load_dword v221, v[195:196], off offset:256
	;; [unrolled: 1-line block ×4, first 2 shown]
	ds_read2_b32 v[85:86], v133 offset0:72 offset1:180
	s_waitcnt lgkmcnt(2)
	v_lshrrev_b32_e32 v89, 16, v203
	s_waitcnt vmcnt(21)
	v_mul_f16_sdwa v143, v203, v204 dst_sel:DWORD dst_unused:UNUSED_PAD src0_sel:DWORD src1_sel:WORD_1
	v_fma_f16 v143, v89, v204, v143
	v_mul_f16_sdwa v89, v89, v204 dst_sel:DWORD dst_unused:UNUSED_PAD src0_sel:DWORD src1_sel:WORD_1
	v_fma_f16 v89, v203, v204, -v89
	v_pack_b32_f16 v89, v89, v143
	s_waitcnt lgkmcnt(0)
	v_lshrrev_b32_e32 v143, 16, v85
	s_waitcnt vmcnt(20)
	v_mul_f16_sdwa v197, v85, v205 dst_sel:DWORD dst_unused:UNUSED_PAD src0_sel:DWORD src1_sel:WORD_1
	ds_read2_b32 v[203:204], v134 offset0:88 offset1:196
	v_fma_f16 v197, v143, v205, v197
	v_mul_f16_sdwa v143, v143, v205 dst_sel:DWORD dst_unused:UNUSED_PAD src0_sel:DWORD src1_sel:WORD_1
	v_fma_f16 v85, v85, v205, -v143
	v_pack_b32_f16 v85, v85, v197
	ds_write2_b32 v141, v89, v85 offset0:92 offset1:200
	global_load_dword v89, v[139:140], off offset:48
	s_waitcnt lgkmcnt(1)
	v_lshrrev_b32_e32 v85, 16, v204
	s_waitcnt vmcnt(20)
	v_mul_f16_sdwa v141, v204, v207 dst_sel:DWORD dst_unused:UNUSED_PAD src0_sel:DWORD src1_sel:WORD_1
	v_fma_f16 v141, v85, v207, v141
	v_mul_f16_sdwa v85, v85, v207 dst_sel:DWORD dst_unused:UNUSED_PAD src0_sel:DWORD src1_sel:WORD_1
	v_fma_f16 v85, v204, v207, -v85
	global_load_dword v204, v[139:140], off offset:480
	ds_read2_b32 v[205:206], v121 offset0:48 offset1:156
	v_pack_b32_f16 v85, v85, v141
	s_waitcnt lgkmcnt(0)
	v_lshrrev_b32_e32 v141, 16, v205
	s_waitcnt vmcnt(20)
	v_mul_f16_sdwa v143, v205, v208 dst_sel:DWORD dst_unused:UNUSED_PAD src0_sel:DWORD src1_sel:WORD_1
	v_fma_f16 v143, v141, v208, v143
	v_mul_f16_sdwa v141, v141, v208 dst_sel:DWORD dst_unused:UNUSED_PAD src0_sel:DWORD src1_sel:WORD_1
	v_fma_f16 v141, v205, v208, -v141
	v_pack_b32_f16 v141, v141, v143
	v_add_u32_e32 v143, 0x400, v136
	ds_write2_b32 v143, v85, v141 offset0:68 offset1:176
	v_lshrrev_b32_e32 v85, 16, v86
	s_waitcnt vmcnt(19)
	v_mul_f16_sdwa v141, v85, v209 dst_sel:DWORD dst_unused:UNUSED_PAD src0_sel:DWORD src1_sel:WORD_1
	v_fma_f16 v141, v86, v209, -v141
	v_mul_f16_sdwa v86, v86, v209 dst_sel:DWORD dst_unused:UNUSED_PAD src0_sel:DWORD src1_sel:WORD_1
	v_fma_f16 v143, v85, v209, v86
	ds_read2_b32 v[85:86], v119 offset0:32 offset1:140
	global_load_dword v205, v[139:140], off offset:912
	global_load_dword v207, v[195:196], off offset:3280
	;; [unrolled: 1-line block ×3, first 2 shown]
	v_pack_b32_f16 v141, v141, v143
	s_waitcnt lgkmcnt(0)
	v_lshrrev_b32_e32 v143, 16, v85
	s_waitcnt vmcnt(16)
	v_mul_f16_sdwa v139, v85, v215 dst_sel:DWORD dst_unused:UNUSED_PAD src0_sel:DWORD src1_sel:WORD_1
	v_fma_f16 v195, v143, v215, v139
	ds_read2_b32 v[139:140], v124 offset0:104 offset1:212
	v_mul_f16_sdwa v143, v143, v215 dst_sel:DWORD dst_unused:UNUSED_PAD src0_sel:DWORD src1_sel:WORD_1
	v_fma_f16 v85, v85, v215, -v143
	v_pack_b32_f16 v85, v85, v195
	ds_write2_b32 v142, v141, v85 offset0:52 offset1:160
	ds_read2_b32 v[141:142], v115 offset0:64 offset1:172
	s_waitcnt lgkmcnt(2)
	v_lshrrev_b32_e32 v85, 16, v140
	ds_read2_b32 v[195:196], v111 offset0:136 offset1:244
	s_waitcnt vmcnt(13)
	v_mul_f16_sdwa v143, v140, v216 dst_sel:DWORD dst_unused:UNUSED_PAD src0_sel:DWORD src1_sel:WORD_1
	v_fma_f16 v143, v85, v216, v143
	v_mul_f16_sdwa v85, v85, v216 dst_sel:DWORD dst_unused:UNUSED_PAD src0_sel:DWORD src1_sel:WORD_1
	v_fma_f16 v85, v140, v216, -v85
	v_pack_b32_f16 v85, v85, v143
	s_waitcnt lgkmcnt(1)
	v_lshrrev_b32_e32 v140, 16, v141
	s_waitcnt vmcnt(9)
	v_mul_f16_sdwa v143, v141, v220 dst_sel:DWORD dst_unused:UNUSED_PAD src0_sel:DWORD src1_sel:WORD_1
	v_fma_f16 v143, v140, v220, v143
	v_mul_f16_sdwa v140, v140, v220 dst_sel:DWORD dst_unused:UNUSED_PAD src0_sel:DWORD src1_sel:WORD_1
	v_fma_f16 v140, v141, v220, -v140
	v_pack_b32_f16 v140, v140, v143
	ds_write2_b32 v144, v85, v140 offset0:84 offset1:192
	ds_read2_b32 v[140:141], v102 offset0:96 offset1:204
	s_waitcnt lgkmcnt(2)
	v_lshrrev_b32_e32 v85, 16, v196
	v_mul_f16_sdwa v143, v196, v214 dst_sel:DWORD dst_unused:UNUSED_PAD src0_sel:DWORD src1_sel:WORD_1
	v_fma_f16 v143, v85, v214, v143
	v_mul_f16_sdwa v85, v85, v214 dst_sel:DWORD dst_unused:UNUSED_PAD src0_sel:DWORD src1_sel:WORD_1
	v_fma_f16 v85, v196, v214, -v85
	v_pack_b32_f16 v85, v85, v143
	s_waitcnt lgkmcnt(0)
	v_lshrrev_b32_e32 v143, 16, v140
	v_mul_f16_sdwa v144, v140, v217 dst_sel:DWORD dst_unused:UNUSED_PAD src0_sel:DWORD src1_sel:WORD_1
	v_fma_f16 v144, v143, v217, v144
	v_mul_f16_sdwa v143, v143, v217 dst_sel:DWORD dst_unused:UNUSED_PAD src0_sel:DWORD src1_sel:WORD_1
	v_fma_f16 v140, v140, v217, -v143
	v_pack_b32_f16 v140, v140, v144
	v_add_u32_e32 v143, 0xa00, v136
	ds_write2_b32 v143, v85, v140 offset0:116 offset1:224
	ds_read2_b32 v[143:144], v106 offset0:24 offset1:132
	v_lshrrev_b32_e32 v85, 16, v142
	s_waitcnt vmcnt(8)
	v_mul_f16_sdwa v140, v85, v91 dst_sel:DWORD dst_unused:UNUSED_PAD src0_sel:DWORD src1_sel:WORD_1
	v_fma_f16 v140, v142, v91, -v140
	v_mul_f16_sdwa v142, v142, v91 dst_sel:DWORD dst_unused:UNUSED_PAD src0_sel:DWORD src1_sel:WORD_1
	v_fma_f16 v85, v85, v91, v142
	ds_read2_b32 v[196:197], v112 offset0:120 offset1:228
	v_pack_b32_f16 v85, v140, v85
	s_waitcnt lgkmcnt(1)
	v_lshrrev_b32_e32 v91, 16, v143
	s_waitcnt vmcnt(7)
	v_mul_f16_sdwa v140, v143, v221 dst_sel:DWORD dst_unused:UNUSED_PAD src0_sel:DWORD src1_sel:WORD_1
	v_fma_f16 v140, v91, v221, v140
	v_mul_f16_sdwa v91, v91, v221 dst_sel:DWORD dst_unused:UNUSED_PAD src0_sel:DWORD src1_sel:WORD_1
	v_fma_f16 v91, v143, v221, -v91
	ds_read2_b32 v[142:143], v104 offset0:80 offset1:188
	v_pack_b32_f16 v91, v91, v140
	ds_write2_b32 v146, v85, v91 offset0:44 offset1:152
	s_waitcnt lgkmcnt(2)
	v_lshrrev_b32_e32 v85, 16, v197
	s_waitcnt vmcnt(4)
	v_mul_f16_sdwa v91, v197, v89 dst_sel:DWORD dst_unused:UNUSED_PAD src0_sel:DWORD src1_sel:WORD_1
	v_fma_f16 v91, v85, v89, v91
	v_mul_f16_sdwa v85, v85, v89 dst_sel:DWORD dst_unused:UNUSED_PAD src0_sel:DWORD src1_sel:WORD_1
	v_fma_f16 v85, v197, v89, -v85
	v_pack_b32_f16 v85, v85, v91
	s_waitcnt lgkmcnt(1)
	v_lshrrev_b32_e32 v89, 16, v142
	s_waitcnt vmcnt(3)
	v_mul_f16_sdwa v91, v142, v204 dst_sel:DWORD dst_unused:UNUSED_PAD src0_sel:DWORD src1_sel:WORD_1
	v_fma_f16 v91, v89, v204, v91
	v_mul_f16_sdwa v89, v89, v204 dst_sel:DWORD dst_unused:UNUSED_PAD src0_sel:DWORD src1_sel:WORD_1
	v_fma_f16 v89, v142, v204, -v89
	v_pack_b32_f16 v89, v89, v91
	ds_write2_b32 v145, v85, v89 offset0:100 offset1:208
	v_lshrrev_b32_e32 v85, 16, v201
	v_mul_f16_sdwa v91, v201, v219 dst_sel:DWORD dst_unused:UNUSED_PAD src0_sel:DWORD src1_sel:WORD_1
	v_mul_f16_sdwa v89, v85, v219 dst_sel:DWORD dst_unused:UNUSED_PAD src0_sel:DWORD src1_sel:WORD_1
	v_fma_f16 v85, v85, v219, v91
	v_lshrrev_b32_e32 v91, 16, v141
	v_mul_f16_sdwa v140, v91, v218 dst_sel:DWORD dst_unused:UNUSED_PAD src0_sel:DWORD src1_sel:WORD_1
	v_fma_f16 v140, v141, v218, -v140
	v_mul_f16_sdwa v141, v141, v218 dst_sel:DWORD dst_unused:UNUSED_PAD src0_sel:DWORD src1_sel:WORD_1
	v_fma_f16 v89, v201, v219, -v89
	v_fma_f16 v91, v91, v218, v141
	v_pack_b32_f16 v85, v89, v85
	v_pack_b32_f16 v89, v140, v91
	v_add_u32_e32 v91, 0xe00, v136
	ds_write2_b32 v91, v89, v85 offset0:76 offset1:184
	v_lshrrev_b32_e32 v85, 16, v202
	v_mul_f16_sdwa v91, v202, v223 dst_sel:DWORD dst_unused:UNUSED_PAD src0_sel:DWORD src1_sel:WORD_1
	v_mul_f16_sdwa v89, v85, v223 dst_sel:DWORD dst_unused:UNUSED_PAD src0_sel:DWORD src1_sel:WORD_1
	v_fma_f16 v85, v85, v223, v91
	v_lshrrev_b32_e32 v91, 16, v200
	v_mul_f16_sdwa v141, v200, v210 dst_sel:DWORD dst_unused:UNUSED_PAD src0_sel:DWORD src1_sel:WORD_1
	v_mul_f16_sdwa v140, v91, v210 dst_sel:DWORD dst_unused:UNUSED_PAD src0_sel:DWORD src1_sel:WORD_1
	v_fma_f16 v91, v91, v210, v141
	v_lshrrev_b32_e32 v141, 16, v203
	v_mul_f16_sdwa v142, v141, v211 dst_sel:DWORD dst_unused:UNUSED_PAD src0_sel:DWORD src1_sel:WORD_1
	v_mul_f16_sdwa v145, v203, v211 dst_sel:DWORD dst_unused:UNUSED_PAD src0_sel:DWORD src1_sel:WORD_1
	v_fma_f16 v140, v200, v210, -v140
	v_fma_f16 v142, v203, v211, -v142
	v_fma_f16 v141, v141, v211, v145
	v_pack_b32_f16 v91, v140, v91
	v_pack_b32_f16 v140, v142, v141
	ds_write2_b32 v136, v91, v140 offset0:108 offset1:216
	v_lshrrev_b32_e32 v91, 16, v198
	v_mul_f16_sdwa v140, v91, v87 dst_sel:DWORD dst_unused:UNUSED_PAD src0_sel:DWORD src1_sel:WORD_1
	v_mul_f16_sdwa v141, v198, v87 dst_sel:DWORD dst_unused:UNUSED_PAD src0_sel:DWORD src1_sel:WORD_1
	v_fma_f16 v140, v198, v87, -v140
	v_fma_f16 v87, v91, v87, v141
	v_lshrrev_b32_e32 v91, 16, v139
	v_mul_f16_sdwa v141, v91, v199 dst_sel:DWORD dst_unused:UNUSED_PAD src0_sel:DWORD src1_sel:WORD_1
	v_fma_f16 v141, v139, v199, -v141
	v_mul_f16_sdwa v139, v139, v199 dst_sel:DWORD dst_unused:UNUSED_PAD src0_sel:DWORD src1_sel:WORD_1
	v_fma_f16 v91, v91, v199, v139
	v_pack_b32_f16 v87, v140, v87
	v_pack_b32_f16 v91, v141, v91
	ds_write2_b32 v130, v87, v91 offset0:124 offset1:232
	v_lshrrev_b32_e32 v87, 16, v206
	v_mul_f16_sdwa v139, v206, v212 dst_sel:DWORD dst_unused:UNUSED_PAD src0_sel:DWORD src1_sel:WORD_1
	v_mul_f16_sdwa v91, v87, v212 dst_sel:DWORD dst_unused:UNUSED_PAD src0_sel:DWORD src1_sel:WORD_1
	v_fma_f16 v87, v87, v212, v139
	v_lshrrev_b32_e32 v139, 16, v86
	s_waitcnt vmcnt(1)
	v_mul_f16_sdwa v140, v139, v207 dst_sel:DWORD dst_unused:UNUSED_PAD src0_sel:DWORD src1_sel:WORD_1
	v_fma_f16 v140, v86, v207, -v140
	v_mul_f16_sdwa v86, v86, v207 dst_sel:DWORD dst_unused:UNUSED_PAD src0_sel:DWORD src1_sel:WORD_1
	v_fma_f16 v86, v139, v207, v86
	v_lshrrev_b32_e32 v139, 16, v195
	v_mul_f16_sdwa v141, v139, v213 dst_sel:DWORD dst_unused:UNUSED_PAD src0_sel:DWORD src1_sel:WORD_1
	v_mul_f16_sdwa v142, v195, v213 dst_sel:DWORD dst_unused:UNUSED_PAD src0_sel:DWORD src1_sel:WORD_1
	v_fma_f16 v91, v206, v212, -v91
	v_fma_f16 v141, v195, v213, -v141
	v_fma_f16 v139, v139, v213, v142
	v_pack_b32_f16 v87, v91, v87
	v_pack_b32_f16 v91, v141, v139
	ds_write2_b32 v111, v87, v91 offset0:28 offset1:136
	v_lshrrev_b32_e32 v87, 16, v196
	s_waitcnt vmcnt(0)
	v_mul_f16_sdwa v91, v87, v208 dst_sel:DWORD dst_unused:UNUSED_PAD src0_sel:DWORD src1_sel:WORD_1
	v_mul_f16_sdwa v139, v196, v208 dst_sel:DWORD dst_unused:UNUSED_PAD src0_sel:DWORD src1_sel:WORD_1
	v_fma_f16 v91, v196, v208, -v91
	v_fma_f16 v87, v87, v208, v139
	v_pack_b32_f16 v86, v140, v86
	v_pack_b32_f16 v87, v91, v87
	ds_write2_b32 v119, v86, v87 offset0:140 offset1:248
	v_lshrrev_b32_e32 v86, 16, v144
	v_mul_f16_sdwa v87, v86, v222 dst_sel:DWORD dst_unused:UNUSED_PAD src0_sel:DWORD src1_sel:WORD_1
	v_mul_f16_sdwa v91, v144, v222 dst_sel:DWORD dst_unused:UNUSED_PAD src0_sel:DWORD src1_sel:WORD_1
	v_fma_f16 v89, v202, v223, -v89
	v_fma_f16 v87, v144, v222, -v87
	v_fma_f16 v86, v86, v222, v91
	v_pack_b32_f16 v85, v89, v85
	v_pack_b32_f16 v86, v87, v86
	ds_write2_b32 v137, v86, v85 offset0:4 offset1:112
	v_lshrrev_b32_e32 v85, 16, v143
	v_mul_f16_sdwa v86, v85, v205 dst_sel:DWORD dst_unused:UNUSED_PAD src0_sel:DWORD src1_sel:WORD_1
	v_mul_f16_sdwa v87, v143, v205 dst_sel:DWORD dst_unused:UNUSED_PAD src0_sel:DWORD src1_sel:WORD_1
	v_fma_f16 v86, v143, v205, -v86
	v_fma_f16 v85, v85, v205, v87
	v_pack_b32_f16 v85, v86, v85
	ds_write_b32 v136, v85 offset:12528
	s_waitcnt lgkmcnt(0)
	s_barrier
	ds_read2_b32 v[85:86], v134 offset0:88 offset1:196
	ds_read2_b32 v[139:140], v130 offset0:16 offset1:124
	;; [unrolled: 1-line block ×3, first 2 shown]
	s_waitcnt lgkmcnt(1)
	v_pk_add_f16 v87, v85, v139
	s_waitcnt lgkmcnt(0)
	v_pk_add_f16 v89, v139, v141
	v_pk_add_f16 v91, v139, v141 neg_lo:[0,1] neg_hi:[0,1]
	v_pk_add_f16 v195, v86, v140
	v_pk_add_f16 v196, v140, v142
	v_pk_add_f16 v197, v140, v142 neg_lo:[0,1] neg_hi:[0,1]
	ds_read2_b32 v[139:140], v121 offset0:48 offset1:156
	ds_read2_b32 v[143:144], v124 offset0:104 offset1:212
	;; [unrolled: 1-line block ×3, first 2 shown]
	v_pk_fma_f16 v89, v89, 0.5, v85 op_sel_hi:[1,0,1] neg_lo:[1,0,0] neg_hi:[1,0,0]
	v_pk_add_f16 v87, v87, v141
	v_pk_add_f16 v198, v195, v142
	s_waitcnt lgkmcnt(1)
	v_pk_add_f16 v85, v139, v143
	v_pk_fma_f16 v199, v196, 0.5, v86 op_sel_hi:[1,0,1] neg_lo:[1,0,0] neg_hi:[1,0,0]
	s_waitcnt lgkmcnt(0)
	v_pk_add_f16 v195, v143, v145
	v_pk_add_f16 v200, v143, v145 neg_lo:[0,1] neg_hi:[0,1]
	v_pk_add_f16 v196, v140, v144
	v_pk_add_f16 v201, v144, v146
	v_pk_add_f16 v202, v144, v146 neg_lo:[0,1] neg_hi:[0,1]
	v_pk_add_f16 v203, v85, v145
	ds_read2_b32 v[85:86], v111 offset0:136 offset1:244
	ds_read2_b32 v[141:142], v115 offset0:64 offset1:172
	ds_read2_b32 v[143:144], v112 offset0:120 offset1:228
	v_pk_add_f16 v204, v196, v146
	v_pk_fma_f16 v205, v195, 0.5, v139 op_sel_hi:[1,0,1] neg_lo:[1,0,0] neg_hi:[1,0,0]
	v_pk_fma_f16 v201, v201, 0.5, v140 op_sel_hi:[1,0,1] neg_lo:[1,0,0] neg_hi:[1,0,0]
	s_waitcnt lgkmcnt(1)
	v_pk_add_f16 v139, v85, v141
	s_waitcnt lgkmcnt(0)
	v_pk_add_f16 v195, v141, v143
	v_pk_add_f16 v196, v86, v142
	;; [unrolled: 1-line block ×3, first 2 shown]
	v_pk_add_f16 v206, v141, v143 neg_lo:[0,1] neg_hi:[0,1]
	v_pk_add_f16 v208, v142, v144 neg_lo:[0,1] neg_hi:[0,1]
	v_pk_add_f16 v209, v139, v143
	ds_read2_b32 v[139:140], v102 offset0:96 offset1:204
	ds_read2_b32 v[141:142], v106 offset0:24 offset1:132
	;; [unrolled: 1-line block ×3, first 2 shown]
	v_pk_add_f16 v210, v196, v144
	v_pk_fma_f16 v211, v195, 0.5, v85 op_sel_hi:[1,0,1] neg_lo:[1,0,0] neg_hi:[1,0,0]
	v_pk_fma_f16 v207, v207, 0.5, v86 op_sel_hi:[1,0,1] neg_lo:[1,0,0] neg_hi:[1,0,0]
	ds_read2_b32 v[85:86], v136 offset1:108
	ds_read2_b32 v[143:144], v138 offset0:56 offset1:164
	ds_read2_b32 v[195:196], v137 offset0:112 offset1:220
	s_waitcnt lgkmcnt(4)
	v_pk_add_f16 v212, v139, v141
	s_waitcnt lgkmcnt(3)
	v_pk_add_f16 v213, v141, v145
	v_pk_add_f16 v141, v141, v145 neg_lo:[0,1] neg_hi:[0,1]
	s_waitcnt lgkmcnt(1)
	v_pk_add_f16 v216, v85, v143
	s_waitcnt lgkmcnt(0)
	v_pk_add_f16 v217, v143, v195
	v_pk_add_f16 v143, v143, v195 neg_lo:[0,1] neg_hi:[0,1]
	v_pk_add_f16 v214, v140, v142
	v_pk_add_f16 v145, v212, v145
	;; [unrolled: 1-line block ×3, first 2 shown]
	v_pk_fma_f16 v85, v217, 0.5, v85 op_sel_hi:[1,0,1] neg_lo:[1,0,0] neg_hi:[1,0,0]
	v_pk_mul_f16 v143, v143, s0 op_sel_hi:[1,0]
	v_pk_add_f16 v215, v142, v146
	v_pk_add_f16 v142, v142, v146 neg_lo:[0,1] neg_hi:[0,1]
	v_pk_add_f16 v146, v214, v146
	v_pk_add_f16 v214, v144, v196
	v_pk_add_f16 v144, v144, v196 neg_lo:[0,1] neg_hi:[0,1]
	v_pk_add_f16 v196, v212, v196
	v_pk_add_f16 v212, v85, v143 op_sel:[0,1] op_sel_hi:[1,0] neg_lo:[0,1] neg_hi:[0,1]
	v_pk_add_f16 v85, v85, v143 op_sel:[0,1] op_sel_hi:[1,0]
	v_bfi_b32 v143, s2, v212, v85
	v_bfi_b32 v85, s2, v85, v212
	v_pk_add_f16 v195, v216, v195
	v_pk_fma_f16 v86, v214, 0.5, v86 op_sel_hi:[1,0,1] neg_lo:[1,0,0] neg_hi:[1,0,0]
	s_barrier
	ds_write_b32 v147, v85 offset:8
	v_pk_mul_f16 v85, v144, s0 op_sel_hi:[1,0]
	ds_write2_b32 v147, v195, v143 offset1:1
	v_pk_add_f16 v143, v86, v85 op_sel:[0,1] op_sel_hi:[1,0] neg_lo:[0,1] neg_hi:[0,1]
	v_pk_add_f16 v85, v86, v85 op_sel:[0,1] op_sel_hi:[1,0]
	v_bfi_b32 v86, s2, v143, v85
	v_bfi_b32 v85, s2, v85, v143
	ds_write_b32 v148, v85 offset:8
	v_pk_mul_f16 v85, v91, s0 op_sel_hi:[1,0]
	ds_write2_b32 v148, v196, v86 offset1:1
	v_pk_add_f16 v86, v89, v85 op_sel:[0,1] op_sel_hi:[1,0] neg_lo:[0,1] neg_hi:[0,1]
	v_pk_add_f16 v85, v89, v85 op_sel:[0,1] op_sel_hi:[1,0]
	v_bfi_b32 v89, s2, v86, v85
	v_bfi_b32 v85, s2, v85, v86
	ds_write_b32 v149, v85 offset:8
	v_pk_mul_f16 v85, v197, s0 op_sel_hi:[1,0]
	v_pk_add_f16 v86, v199, v85 op_sel:[0,1] op_sel_hi:[1,0] neg_lo:[0,1] neg_hi:[0,1]
	v_pk_add_f16 v85, v199, v85 op_sel:[0,1] op_sel_hi:[1,0]
	ds_write2_b32 v149, v87, v89 offset1:1
	v_bfi_b32 v87, s2, v86, v85
	v_bfi_b32 v85, s2, v85, v86
	ds_write_b32 v150, v85 offset:8
	v_pk_mul_f16 v85, v200, s0 op_sel_hi:[1,0]
	v_pk_add_f16 v86, v205, v85 op_sel:[0,1] op_sel_hi:[1,0] neg_lo:[0,1] neg_hi:[0,1]
	v_pk_add_f16 v85, v205, v85 op_sel:[0,1] op_sel_hi:[1,0]
	ds_write2_b32 v150, v198, v87 offset1:1
	;; [unrolled: 7-line block ×5, first 2 shown]
	v_bfi_b32 v87, s2, v86, v85
	v_bfi_b32 v85, s2, v85, v86
	ds_write_b32 v154, v85 offset:8
	v_pk_fma_f16 v85, v213, 0.5, v139 op_sel_hi:[1,0,1] neg_lo:[1,0,0] neg_hi:[1,0,0]
	v_pk_mul_f16 v86, v141, s0 op_sel_hi:[1,0]
	ds_write2_b32 v154, v210, v87 offset1:1
	v_pk_add_f16 v87, v85, v86 op_sel:[0,1] op_sel_hi:[1,0] neg_lo:[0,1] neg_hi:[0,1]
	v_pk_add_f16 v85, v85, v86 op_sel:[0,1] op_sel_hi:[1,0]
	v_bfi_b32 v86, s2, v87, v85
	v_bfi_b32 v85, s2, v85, v87
	ds_write2_b32 v155, v145, v86 offset1:1
	ds_write_b32 v155, v85 offset:8
	v_pk_fma_f16 v85, v215, 0.5, v140 op_sel_hi:[1,0,1] neg_lo:[1,0,0] neg_hi:[1,0,0]
	v_pk_mul_f16 v86, v142, s0 op_sel_hi:[1,0]
	v_pk_add_f16 v87, v85, v86 op_sel:[0,1] op_sel_hi:[1,0] neg_lo:[0,1] neg_hi:[0,1]
	v_pk_add_f16 v85, v85, v86 op_sel:[0,1] op_sel_hi:[1,0]
	v_bfi_b32 v86, s2, v87, v85
	v_bfi_b32 v85, s2, v85, v87
	ds_write2_b32 v156, v146, v86 offset1:1
	ds_write_b32 v156, v85 offset:8
	s_waitcnt lgkmcnt(0)
	s_barrier
	ds_read2_b32 v[85:86], v138 offset0:56 offset1:164
	ds_read2_b32 v[139:140], v137 offset0:112 offset1:220
	s_mov_b32 s2, 0xb4f2
	s_waitcnt lgkmcnt(1)
	v_lshrrev_b32_e32 v87, 16, v85
	v_mul_f16_sdwa v89, v65, v85 dst_sel:DWORD dst_unused:UNUSED_PAD src0_sel:WORD_1 src1_sel:DWORD
	v_fma_f16 v89, v65, v87, -v89
	v_mul_f16_sdwa v87, v65, v87 dst_sel:DWORD dst_unused:UNUSED_PAD src0_sel:WORD_1 src1_sel:DWORD
	v_fma_f16 v85, v65, v85, v87
	s_waitcnt lgkmcnt(0)
	v_lshrrev_b32_e32 v65, 16, v139
	v_mul_f16_sdwa v87, v66, v139 dst_sel:DWORD dst_unused:UNUSED_PAD src0_sel:WORD_1 src1_sel:DWORD
	v_fma_f16 v87, v66, v65, -v87
	v_mul_f16_sdwa v65, v66, v65 dst_sel:DWORD dst_unused:UNUSED_PAD src0_sel:WORD_1 src1_sel:DWORD
	v_fma_f16 v91, v66, v139, v65
	v_lshrrev_b32_e32 v65, 16, v86
	v_mul_f16_sdwa v66, v69, v65 dst_sel:DWORD dst_unused:UNUSED_PAD src0_sel:WORD_1 src1_sel:DWORD
	v_fma_f16 v139, v69, v86, v66
	v_mul_f16_sdwa v66, v69, v86 dst_sel:DWORD dst_unused:UNUSED_PAD src0_sel:WORD_1 src1_sel:DWORD
	v_fma_f16 v86, v69, v65, -v66
	v_lshrrev_b32_e32 v69, 16, v140
	ds_read2_b32 v[65:66], v130 offset0:16 offset1:124
	v_mul_f16_sdwa v141, v70, v69 dst_sel:DWORD dst_unused:UNUSED_PAD src0_sel:WORD_1 src1_sel:DWORD
	v_fma_f16 v141, v70, v140, v141
	v_mul_f16_sdwa v140, v70, v140 dst_sel:DWORD dst_unused:UNUSED_PAD src0_sel:WORD_1 src1_sel:DWORD
	v_fma_f16 v140, v70, v69, -v140
	ds_read2_b32 v[69:70], v133 offset0:72 offset1:180
	s_waitcnt lgkmcnt(1)
	v_lshrrev_b32_e32 v142, 16, v65
	v_mul_f16_sdwa v143, v71, v65 dst_sel:DWORD dst_unused:UNUSED_PAD src0_sel:WORD_1 src1_sel:DWORD
	v_fma_f16 v143, v71, v142, -v143
	v_mul_f16_sdwa v142, v71, v142 dst_sel:DWORD dst_unused:UNUSED_PAD src0_sel:WORD_1 src1_sel:DWORD
	v_fma_f16 v142, v71, v65, v142
	s_waitcnt lgkmcnt(0)
	v_lshrrev_b32_e32 v65, 16, v69
	v_mul_f16_sdwa v71, v72, v69 dst_sel:DWORD dst_unused:UNUSED_PAD src0_sel:WORD_1 src1_sel:DWORD
	v_fma_f16 v144, v72, v65, -v71
	v_mul_f16_sdwa v65, v72, v65 dst_sel:DWORD dst_unused:UNUSED_PAD src0_sel:WORD_1 src1_sel:DWORD
	v_fma_f16 v145, v72, v69, v65
	v_lshrrev_b32_e32 v65, 16, v66
	v_mul_f16_sdwa v69, v67, v65 dst_sel:DWORD dst_unused:UNUSED_PAD src0_sel:WORD_1 src1_sel:DWORD
	v_fma_f16 v146, v67, v66, v69
	v_mul_f16_sdwa v66, v67, v66 dst_sel:DWORD dst_unused:UNUSED_PAD src0_sel:WORD_1 src1_sel:DWORD
	v_fma_f16 v147, v67, v65, -v66
	v_lshrrev_b32_e32 v67, 16, v70
	ds_read2_b32 v[65:66], v124 offset0:104 offset1:212
	v_mul_f16_sdwa v69, v68, v67 dst_sel:DWORD dst_unused:UNUSED_PAD src0_sel:WORD_1 src1_sel:DWORD
	v_fma_f16 v148, v68, v70, v69
	v_mul_f16_sdwa v69, v68, v70 dst_sel:DWORD dst_unused:UNUSED_PAD src0_sel:WORD_1 src1_sel:DWORD
	v_fma_f16 v149, v68, v67, -v69
	ds_read2_b32 v[67:68], v119 offset0:32 offset1:140
	s_waitcnt lgkmcnt(1)
	v_lshrrev_b32_e32 v69, 16, v65
	v_mul_f16_sdwa v70, v83, v65 dst_sel:DWORD dst_unused:UNUSED_PAD src0_sel:WORD_1 src1_sel:DWORD
	v_fma_f16 v150, v83, v69, -v70
	v_mul_f16_sdwa v69, v83, v69 dst_sel:DWORD dst_unused:UNUSED_PAD src0_sel:WORD_1 src1_sel:DWORD
	v_fma_f16 v83, v83, v65, v69
	s_waitcnt lgkmcnt(0)
	v_lshrrev_b32_e32 v65, 16, v67
	v_mul_f16_sdwa v69, v84, v67 dst_sel:DWORD dst_unused:UNUSED_PAD src0_sel:WORD_1 src1_sel:DWORD
	v_fma_f16 v151, v84, v65, -v69
	v_mul_f16_sdwa v65, v84, v65 dst_sel:DWORD dst_unused:UNUSED_PAD src0_sel:WORD_1 src1_sel:DWORD
	v_fma_f16 v84, v84, v67, v65
	v_lshrrev_b32_e32 v65, 16, v66
	v_mul_f16_sdwa v67, v81, v65 dst_sel:DWORD dst_unused:UNUSED_PAD src0_sel:WORD_1 src1_sel:DWORD
	v_fma_f16 v152, v81, v66, v67
	v_mul_f16_sdwa v66, v81, v66 dst_sel:DWORD dst_unused:UNUSED_PAD src0_sel:WORD_1 src1_sel:DWORD
	v_lshrrev_b32_e32 v67, 16, v68
	v_fma_f16 v81, v81, v65, -v66
	ds_read2_b32 v[65:66], v115 offset0:64 offset1:172
	v_mul_f16_sdwa v69, v82, v67 dst_sel:DWORD dst_unused:UNUSED_PAD src0_sel:WORD_1 src1_sel:DWORD
	v_fma_f16 v153, v82, v68, v69
	v_mul_f16_sdwa v68, v82, v68 dst_sel:DWORD dst_unused:UNUSED_PAD src0_sel:WORD_1 src1_sel:DWORD
	v_fma_f16 v82, v82, v67, -v68
	ds_read2_b32 v[67:68], v112 offset0:120 offset1:228
	s_waitcnt lgkmcnt(1)
	v_lshrrev_b32_e32 v69, 16, v65
	v_mul_f16_sdwa v70, v79, v65 dst_sel:DWORD dst_unused:UNUSED_PAD src0_sel:WORD_1 src1_sel:DWORD
	v_fma_f16 v154, v79, v69, -v70
	v_mul_f16_sdwa v69, v79, v69 dst_sel:DWORD dst_unused:UNUSED_PAD src0_sel:WORD_1 src1_sel:DWORD
	v_fma_f16 v79, v79, v65, v69
	s_waitcnt lgkmcnt(0)
	v_lshrrev_b32_e32 v65, 16, v67
	v_mul_f16_sdwa v69, v80, v67 dst_sel:DWORD dst_unused:UNUSED_PAD src0_sel:WORD_1 src1_sel:DWORD
	v_fma_f16 v155, v80, v65, -v69
	v_mul_f16_sdwa v65, v80, v65 dst_sel:DWORD dst_unused:UNUSED_PAD src0_sel:WORD_1 src1_sel:DWORD
	v_fma_f16 v80, v80, v67, v65
	v_lshrrev_b32_e32 v65, 16, v66
	v_mul_f16_sdwa v67, v77, v65 dst_sel:DWORD dst_unused:UNUSED_PAD src0_sel:WORD_1 src1_sel:DWORD
	v_fma_f16 v156, v77, v66, v67
	v_mul_f16_sdwa v66, v77, v66 dst_sel:DWORD dst_unused:UNUSED_PAD src0_sel:WORD_1 src1_sel:DWORD
	v_lshrrev_b32_e32 v67, 16, v68
	v_fma_f16 v77, v77, v65, -v66
	ds_read2_b32 v[65:66], v106 offset0:24 offset1:132
	v_mul_f16_sdwa v69, v78, v67 dst_sel:DWORD dst_unused:UNUSED_PAD src0_sel:WORD_1 src1_sel:DWORD
	v_fma_f16 v195, v78, v68, v69
	v_mul_f16_sdwa v68, v78, v68 dst_sel:DWORD dst_unused:UNUSED_PAD src0_sel:WORD_1 src1_sel:DWORD
	v_fma_f16 v78, v78, v67, -v68
	ds_read2_b32 v[67:68], v104 offset0:80 offset1:188
	s_waitcnt lgkmcnt(1)
	v_lshrrev_b32_e32 v69, 16, v65
	v_mul_f16_sdwa v70, v75, v65 dst_sel:DWORD dst_unused:UNUSED_PAD src0_sel:WORD_1 src1_sel:DWORD
	v_fma_f16 v196, v75, v69, -v70
	v_mul_f16_sdwa v69, v75, v69 dst_sel:DWORD dst_unused:UNUSED_PAD src0_sel:WORD_1 src1_sel:DWORD
	v_fma_f16 v75, v75, v65, v69
	s_waitcnt lgkmcnt(0)
	v_lshrrev_b32_e32 v65, 16, v67
	v_mul_f16_sdwa v69, v76, v67 dst_sel:DWORD dst_unused:UNUSED_PAD src0_sel:WORD_1 src1_sel:DWORD
	v_fma_f16 v197, v76, v65, -v69
	v_mul_f16_sdwa v65, v76, v65 dst_sel:DWORD dst_unused:UNUSED_PAD src0_sel:WORD_1 src1_sel:DWORD
	v_fma_f16 v76, v76, v67, v65
	v_lshrrev_b32_e32 v65, 16, v66
	v_mul_f16_sdwa v67, v73, v65 dst_sel:DWORD dst_unused:UNUSED_PAD src0_sel:WORD_1 src1_sel:DWORD
	v_fma_f16 v198, v73, v66, v67
	v_mul_f16_sdwa v66, v73, v66 dst_sel:DWORD dst_unused:UNUSED_PAD src0_sel:WORD_1 src1_sel:DWORD
	v_fma_f16 v199, v73, v65, -v66
	ds_read2_b32 v[65:66], v136 offset1:108
	v_lshrrev_b32_e32 v67, 16, v68
	v_mul_f16_sdwa v69, v74, v67 dst_sel:DWORD dst_unused:UNUSED_PAD src0_sel:WORD_1 src1_sel:DWORD
	v_fma_f16 v200, v74, v68, v69
	v_mul_f16_sdwa v68, v74, v68 dst_sel:DWORD dst_unused:UNUSED_PAD src0_sel:WORD_1 src1_sel:DWORD
	v_fma_f16 v201, v74, v67, -v68
	s_waitcnt lgkmcnt(0)
	v_lshrrev_b32_e32 v67, 16, v65
	v_add_f16_e32 v68, v67, v89
	v_add_f16_e32 v69, v89, v87
	;; [unrolled: 1-line block ×3, first 2 shown]
	v_sub_f16_e32 v202, v89, v87
	v_fma_f16 v87, v69, -0.5, v67
	v_add_f16_e32 v67, v65, v85
	v_add_f16_e32 v69, v85, v91
	;; [unrolled: 1-line block ×3, first 2 shown]
	v_sub_f16_e32 v85, v85, v91
	v_fma_f16 v65, v69, -0.5, v65
	v_pack_b32_f16 v89, v67, v68
	v_fma_f16 v67, v202, s1, v65
	v_fma_f16 v68, v85, s0, v87
	;; [unrolled: 1-line block ×4, first 2 shown]
	v_pack_b32_f16 v65, v65, v85
	v_pack_b32_f16 v91, v67, v68
	ds_read2_b32 v[67:68], v134 offset0:88 offset1:196
	ds_read2_b32 v[69:70], v121 offset0:48 offset1:156
	;; [unrolled: 1-line block ×4, first 2 shown]
	s_waitcnt lgkmcnt(0)
	s_barrier
	ds_write_b32 v159, v65 offset:24
	v_add_f16_e32 v65, v139, v141
	v_lshrrev_b32_e32 v85, 16, v66
	ds_write2_b32 v159, v89, v91 offset1:3
	v_fma_f16 v65, v65, -0.5, v66
	v_add_f16_e32 v66, v66, v139
	v_add_f16_e32 v87, v85, v86
	v_sub_f16_e32 v89, v86, v140
	v_add_f16_e32 v86, v86, v140
	v_add_f16_e32 v87, v87, v140
	v_fma_f16 v85, v86, -0.5, v85
	v_add_f16_e32 v66, v66, v141
	v_sub_f16_e32 v86, v139, v141
	v_pack_b32_f16 v66, v66, v87
	v_fma_f16 v87, v89, s1, v65
	v_fma_f16 v91, v86, s0, v85
	v_pack_b32_f16 v87, v87, v91
	ds_write2_b32 v160, v66, v87 offset1:3
	v_fma_f16 v65, v89, s0, v65
	v_fma_f16 v66, v86, s1, v85
	v_pack_b32_f16 v65, v65, v66
	ds_write_b32 v160, v65 offset:24
	v_lshrrev_b32_e32 v65, 16, v67
	v_add_f16_e32 v86, v143, v144
	v_add_f16_e32 v66, v65, v143
	v_fma_f16 v65, v86, -0.5, v65
	v_add_f16_e32 v86, v67, v142
	v_add_f16_e32 v87, v142, v145
	;; [unrolled: 1-line block ×3, first 2 shown]
	v_sub_f16_e32 v85, v143, v144
	v_add_f16_e32 v86, v86, v145
	v_sub_f16_e32 v89, v142, v145
	v_fma_f16 v67, v87, -0.5, v67
	v_pack_b32_f16 v66, v86, v66
	v_fma_f16 v86, v85, s1, v67
	v_fma_f16 v87, v89, s0, v65
	v_pack_b32_f16 v86, v86, v87
	ds_write2_b32 v162, v66, v86 offset1:3
	v_fma_f16 v66, v85, s0, v67
	v_fma_f16 v65, v89, s1, v65
	v_pack_b32_f16 v65, v66, v65
	ds_write_b32 v162, v65 offset:24
	v_add_f16_e32 v65, v146, v148
	v_lshrrev_b32_e32 v66, 16, v68
	v_fma_f16 v65, v65, -0.5, v68
	v_add_f16_e32 v67, v68, v146
	v_add_f16_e32 v68, v66, v147
	;; [unrolled: 1-line block ×4, first 2 shown]
	v_sub_f16_e32 v85, v147, v149
	v_fma_f16 v66, v86, -0.5, v66
	v_add_f16_e32 v67, v67, v148
	v_sub_f16_e32 v86, v146, v148
	v_pack_b32_f16 v67, v67, v68
	v_fma_f16 v68, v85, s1, v65
	v_fma_f16 v87, v86, s0, v66
	;; [unrolled: 1-line block ×4, first 2 shown]
	v_pack_b32_f16 v68, v68, v87
	v_pack_b32_f16 v65, v65, v66
	ds_write2_b32 v163, v67, v68 offset1:3
	ds_write_b32 v163, v65 offset:24
	v_lshrrev_b32_e32 v65, 16, v69
	v_add_f16_e32 v68, v150, v151
	v_add_f16_e32 v66, v65, v150
	v_fma_f16 v65, v68, -0.5, v65
	v_add_f16_e32 v68, v69, v83
	v_add_f16_e32 v66, v66, v151
	;; [unrolled: 1-line block ×4, first 2 shown]
	v_sub_f16_e32 v67, v150, v151
	v_sub_f16_e32 v83, v83, v84
	v_pack_b32_f16 v66, v68, v66
	v_fma_f16 v68, v85, -0.5, v69
	v_fma_f16 v69, v67, s1, v68
	v_fma_f16 v84, v83, s0, v65
	v_pack_b32_f16 v69, v69, v84
	ds_write2_b32 v164, v66, v69 offset1:3
	v_fma_f16 v66, v67, s0, v68
	v_fma_f16 v65, v83, s1, v65
	v_pack_b32_f16 v65, v66, v65
	ds_write_b32 v164, v65 offset:24
	v_add_f16_e32 v65, v152, v153
	v_lshrrev_b32_e32 v66, 16, v70
	v_fma_f16 v65, v65, -0.5, v70
	v_add_f16_e32 v67, v70, v152
	v_add_f16_e32 v68, v66, v81
	;; [unrolled: 1-line block ×4, first 2 shown]
	v_sub_f16_e32 v69, v81, v82
	v_fma_f16 v66, v70, -0.5, v66
	v_add_f16_e32 v67, v67, v153
	v_sub_f16_e32 v70, v152, v153
	v_pack_b32_f16 v67, v67, v68
	v_fma_f16 v68, v69, s1, v65
	v_fma_f16 v81, v70, s0, v66
	;; [unrolled: 1-line block ×4, first 2 shown]
	v_pack_b32_f16 v68, v68, v81
	v_pack_b32_f16 v65, v65, v66
	ds_write2_b32 v165, v67, v68 offset1:3
	ds_write_b32 v165, v65 offset:24
	v_lshrrev_b32_e32 v65, 16, v71
	v_add_f16_e32 v68, v154, v155
	v_add_f16_e32 v66, v65, v154
	v_fma_f16 v65, v68, -0.5, v65
	v_add_f16_e32 v68, v71, v79
	v_add_f16_e32 v66, v66, v155
	;; [unrolled: 1-line block ×4, first 2 shown]
	v_sub_f16_e32 v67, v154, v155
	v_sub_f16_e32 v70, v79, v80
	v_pack_b32_f16 v66, v68, v66
	v_fma_f16 v68, v69, -0.5, v71
	v_fma_f16 v69, v67, s1, v68
	v_fma_f16 v71, v70, s0, v65
	v_pack_b32_f16 v69, v69, v71
	ds_write2_b32 v167, v66, v69 offset1:3
	v_fma_f16 v66, v67, s0, v68
	v_fma_f16 v65, v70, s1, v65
	v_pack_b32_f16 v65, v66, v65
	v_lshrrev_b32_e32 v66, 16, v72
	ds_write_b32 v167, v65 offset:24
	v_add_f16_e32 v65, v156, v195
	v_add_f16_e32 v67, v72, v156
	;; [unrolled: 1-line block ×4, first 2 shown]
	v_fma_f16 v65, v65, -0.5, v72
	v_add_f16_e32 v68, v68, v78
	v_sub_f16_e32 v69, v77, v78
	v_fma_f16 v66, v70, -0.5, v66
	v_add_f16_e32 v67, v67, v195
	v_sub_f16_e32 v70, v156, v195
	v_pack_b32_f16 v67, v67, v68
	v_fma_f16 v68, v69, s1, v65
	v_fma_f16 v71, v70, s0, v66
	;; [unrolled: 1-line block ×4, first 2 shown]
	v_pack_b32_f16 v68, v68, v71
	v_pack_b32_f16 v65, v65, v66
	ds_write2_b32 v168, v67, v68 offset1:3
	ds_write_b32 v168, v65 offset:24
	v_lshrrev_b32_e32 v65, 16, v73
	v_add_f16_e32 v68, v196, v197
	v_add_f16_e32 v66, v65, v196
	v_fma_f16 v65, v68, -0.5, v65
	v_add_f16_e32 v68, v73, v75
	v_add_f16_e32 v66, v66, v197
	;; [unrolled: 1-line block ×4, first 2 shown]
	v_sub_f16_e32 v67, v196, v197
	v_sub_f16_e32 v70, v75, v76
	v_pack_b32_f16 v66, v68, v66
	v_fma_f16 v68, v69, -0.5, v73
	v_fma_f16 v69, v67, s1, v68
	v_fma_f16 v71, v70, s0, v65
	v_pack_b32_f16 v69, v69, v71
	ds_write2_b32 v170, v66, v69 offset1:3
	v_fma_f16 v66, v67, s0, v68
	v_fma_f16 v65, v70, s1, v65
	v_pack_b32_f16 v65, v66, v65
	v_lshrrev_b32_e32 v66, 16, v74
	ds_write_b32 v170, v65 offset:24
	v_add_f16_e32 v65, v198, v200
	v_add_f16_e32 v67, v74, v198
	;; [unrolled: 1-line block ×4, first 2 shown]
	v_fma_f16 v65, v65, -0.5, v74
	v_add_f16_e32 v68, v68, v201
	v_sub_f16_e32 v69, v199, v201
	v_fma_f16 v66, v70, -0.5, v66
	v_add_f16_e32 v67, v67, v200
	v_sub_f16_e32 v70, v198, v200
	v_pack_b32_f16 v67, v67, v68
	v_fma_f16 v68, v69, s1, v65
	v_fma_f16 v71, v70, s0, v66
	;; [unrolled: 1-line block ×4, first 2 shown]
	v_pack_b32_f16 v68, v68, v71
	v_pack_b32_f16 v65, v65, v66
	ds_write2_b32 v171, v67, v68 offset1:3
	ds_write_b32 v171, v65 offset:24
	s_waitcnt lgkmcnt(0)
	s_barrier
	ds_read2_b32 v[65:66], v134 offset0:88 offset1:196
	ds_read2_b32 v[67:68], v111 offset0:136 offset1:244
	;; [unrolled: 1-line block ×5, first 2 shown]
	s_waitcnt lgkmcnt(4)
	v_lshrrev_b32_e32 v69, 16, v66
	v_mul_f16_sdwa v70, v4, v66 dst_sel:DWORD dst_unused:UNUSED_PAD src0_sel:WORD_1 src1_sel:DWORD
	v_fma_f16 v74, v4, v69, -v70
	v_mul_f16_sdwa v69, v4, v69 dst_sel:DWORD dst_unused:UNUSED_PAD src0_sel:WORD_1 src1_sel:DWORD
	v_fma_f16 v75, v4, v66, v69
	s_waitcnt lgkmcnt(3)
	v_lshrrev_b32_e32 v4, 16, v67
	v_mul_f16_sdwa v66, v5, v67 dst_sel:DWORD dst_unused:UNUSED_PAD src0_sel:WORD_1 src1_sel:DWORD
	v_fma_f16 v77, v5, v4, -v66
	v_mul_f16_sdwa v4, v5, v4 dst_sel:DWORD dst_unused:UNUSED_PAD src0_sel:WORD_1 src1_sel:DWORD
	v_fma_f16 v80, v5, v67, v4
	ds_read2_b32 v[4:5], v130 offset0:16 offset1:124
	s_waitcnt lgkmcnt(3)
	v_lshrrev_b32_e32 v66, 16, v84
	v_mul_f16_sdwa v67, v6, v84 dst_sel:DWORD dst_unused:UNUSED_PAD src0_sel:WORD_1 src1_sel:DWORD
	v_fma_f16 v76, v6, v66, -v67
	v_mul_f16_sdwa v66, v6, v66 dst_sel:DWORD dst_unused:UNUSED_PAD src0_sel:WORD_1 src1_sel:DWORD
	v_fma_f16 v78, v6, v84, v66
	s_waitcnt lgkmcnt(0)
	v_lshrrev_b32_e32 v6, 16, v4
	v_mul_f16_sdwa v66, v7, v4 dst_sel:DWORD dst_unused:UNUSED_PAD src0_sel:WORD_1 src1_sel:DWORD
	v_fma_f16 v81, v7, v6, -v66
	v_mul_f16_sdwa v6, v7, v6 dst_sel:DWORD dst_unused:UNUSED_PAD src0_sel:WORD_1 src1_sel:DWORD
	v_fma_f16 v82, v7, v4, v6
	v_lshrrev_b32_e32 v4, 16, v68
	v_mul_f16_sdwa v6, v9, v4 dst_sel:DWORD dst_unused:UNUSED_PAD src0_sel:WORD_1 src1_sel:DWORD
	v_fma_f16 v69, v9, v68, v6
	v_mul_f16_sdwa v6, v9, v68 dst_sel:DWORD dst_unused:UNUSED_PAD src0_sel:WORD_1 src1_sel:DWORD
	v_fma_f16 v66, v9, v4, -v6
	ds_read2_b32 v[6:7], v121 offset0:48 offset1:156
	v_lshrrev_b32_e32 v4, 16, v5
	ds_read2_b32 v[84:85], v138 offset0:56 offset1:164
	v_mul_f16_sdwa v9, v11, v4 dst_sel:DWORD dst_unused:UNUSED_PAD src0_sel:WORD_1 src1_sel:DWORD
	v_fma_f16 v73, v11, v5, v9
	v_mul_f16_sdwa v5, v11, v5 dst_sel:DWORD dst_unused:UNUSED_PAD src0_sel:WORD_1 src1_sel:DWORD
	v_fma_f16 v71, v11, v4, -v5
	s_waitcnt lgkmcnt(1)
	v_lshrrev_b32_e32 v4, 16, v6
	v_mul_f16_sdwa v5, v8, v6 dst_sel:DWORD dst_unused:UNUSED_PAD src0_sel:WORD_1 src1_sel:DWORD
	v_fma_f16 v67, v8, v4, -v5
	v_mul_f16_sdwa v4, v8, v4 dst_sel:DWORD dst_unused:UNUSED_PAD src0_sel:WORD_1 src1_sel:DWORD
	v_fma_f16 v70, v8, v6, v4
	s_waitcnt lgkmcnt(0)
	v_lshrrev_b32_e32 v4, 16, v84
	v_mul_f16_sdwa v5, v10, v84 dst_sel:DWORD dst_unused:UNUSED_PAD src0_sel:WORD_1 src1_sel:DWORD
	v_fma_f16 v68, v10, v4, -v5
	v_mul_f16_sdwa v4, v10, v4 dst_sel:DWORD dst_unused:UNUSED_PAD src0_sel:WORD_1 src1_sel:DWORD
	v_fma_f16 v72, v10, v84, v4
	v_lshrrev_b32_e32 v4, 16, v7
	v_mul_f16_sdwa v6, v48, v7 dst_sel:DWORD dst_unused:UNUSED_PAD src0_sel:WORD_1 src1_sel:DWORD
	v_mul_f16_sdwa v5, v48, v4 dst_sel:DWORD dst_unused:UNUSED_PAD src0_sel:WORD_1 src1_sel:DWORD
	v_fma_f16 v4, v48, v4, -v6
	v_lshrrev_b32_e32 v6, 16, v83
	v_fma_f16 v5, v48, v7, v5
	v_mul_f16_sdwa v7, v49, v6 dst_sel:DWORD dst_unused:UNUSED_PAD src0_sel:WORD_1 src1_sel:DWORD
	v_fma_f16 v9, v49, v83, v7
	v_mul_f16_sdwa v7, v49, v83 dst_sel:DWORD dst_unused:UNUSED_PAD src0_sel:WORD_1 src1_sel:DWORD
	v_fma_f16 v8, v49, v6, -v7
	ds_read2_b32 v[48:49], v124 offset0:104 offset1:212
	v_lshrrev_b32_e32 v6, 16, v85
	v_mul_f16_sdwa v10, v50, v85 dst_sel:DWORD dst_unused:UNUSED_PAD src0_sel:WORD_1 src1_sel:DWORD
	v_mul_f16_sdwa v7, v50, v6 dst_sel:DWORD dst_unused:UNUSED_PAD src0_sel:WORD_1 src1_sel:DWORD
	v_fma_f16 v6, v50, v6, -v10
	s_waitcnt lgkmcnt(0)
	v_lshrrev_b32_e32 v11, 16, v48
	v_mul_f16_sdwa v10, v51, v48 dst_sel:DWORD dst_unused:UNUSED_PAD src0_sel:WORD_1 src1_sel:DWORD
	v_fma_f16 v10, v51, v11, -v10
	v_mul_f16_sdwa v11, v51, v11 dst_sel:DWORD dst_unused:UNUSED_PAD src0_sel:WORD_1 src1_sel:DWORD
	v_fma_f16 v7, v50, v85, v7
	v_fma_f16 v11, v51, v48, v11
	ds_read2_b32 v[50:51], v106 offset0:24 offset1:132
	v_lshrrev_b32_e32 v48, 16, v49
	v_mul_f16_sdwa v79, v0, v48 dst_sel:DWORD dst_unused:UNUSED_PAD src0_sel:WORD_1 src1_sel:DWORD
	v_fma_f16 v84, v0, v49, v79
	v_mul_f16_sdwa v49, v0, v49 dst_sel:DWORD dst_unused:UNUSED_PAD src0_sel:WORD_1 src1_sel:DWORD
	v_fma_f16 v83, v0, v48, -v49
	s_waitcnt lgkmcnt(0)
	v_lshrrev_b32_e32 v0, 16, v50
	v_mul_f16_sdwa v48, v1, v50 dst_sel:DWORD dst_unused:UNUSED_PAD src0_sel:WORD_1 src1_sel:DWORD
	v_fma_f16 v86, v1, v0, -v48
	v_mul_f16_sdwa v0, v1, v0 dst_sel:DWORD dst_unused:UNUSED_PAD src0_sel:WORD_1 src1_sel:DWORD
	v_fma_f16 v89, v1, v50, v0
	ds_read2_b32 v[0:1], v119 offset0:32 offset1:140
	v_lshrrev_b32_e32 v48, 16, v141
	v_mul_f16_sdwa v49, v2, v141 dst_sel:DWORD dst_unused:UNUSED_PAD src0_sel:WORD_1 src1_sel:DWORD
	v_fma_f16 v85, v2, v48, -v49
	v_mul_f16_sdwa v48, v2, v48 dst_sel:DWORD dst_unused:UNUSED_PAD src0_sel:WORD_1 src1_sel:DWORD
	v_fma_f16 v87, v2, v141, v48
	s_waitcnt lgkmcnt(0)
	v_lshrrev_b32_e32 v2, 16, v0
	v_mul_f16_sdwa v48, v3, v0 dst_sel:DWORD dst_unused:UNUSED_PAD src0_sel:WORD_1 src1_sel:DWORD
	v_fma_f16 v91, v3, v2, -v48
	v_mul_f16_sdwa v2, v3, v2 dst_sel:DWORD dst_unused:UNUSED_PAD src0_sel:WORD_1 src1_sel:DWORD
	v_fma_f16 v139, v3, v0, v2
	v_lshrrev_b32_e32 v0, 16, v51
	v_mul_f16_sdwa v2, v45, v0 dst_sel:DWORD dst_unused:UNUSED_PAD src0_sel:WORD_1 src1_sel:DWORD
	v_fma_f16 v49, v45, v51, v2
	v_mul_f16_sdwa v2, v45, v51 dst_sel:DWORD dst_unused:UNUSED_PAD src0_sel:WORD_1 src1_sel:DWORD
	v_fma_f16 v48, v45, v0, -v2
	ds_read2_b32 v[2:3], v115 offset0:64 offset1:172
	v_lshrrev_b32_e32 v0, 16, v1
	ds_read2_b32 v[141:142], v133 offset0:72 offset1:180
	v_mul_f16_sdwa v45, v47, v0 dst_sel:DWORD dst_unused:UNUSED_PAD src0_sel:WORD_1 src1_sel:DWORD
	v_fma_f16 v79, v47, v1, v45
	v_mul_f16_sdwa v1, v47, v1 dst_sel:DWORD dst_unused:UNUSED_PAD src0_sel:WORD_1 src1_sel:DWORD
	v_fma_f16 v51, v47, v0, -v1
	s_waitcnt lgkmcnt(1)
	v_lshrrev_b32_e32 v0, 16, v2
	v_mul_f16_sdwa v1, v44, v2 dst_sel:DWORD dst_unused:UNUSED_PAD src0_sel:WORD_1 src1_sel:DWORD
	v_fma_f16 v45, v44, v0, -v1
	v_mul_f16_sdwa v0, v44, v0 dst_sel:DWORD dst_unused:UNUSED_PAD src0_sel:WORD_1 src1_sel:DWORD
	v_fma_f16 v50, v44, v2, v0
	s_waitcnt lgkmcnt(0)
	v_lshrrev_b32_e32 v0, 16, v141
	v_mul_f16_sdwa v1, v46, v141 dst_sel:DWORD dst_unused:UNUSED_PAD src0_sel:WORD_1 src1_sel:DWORD
	v_fma_f16 v47, v46, v0, -v1
	v_mul_f16_sdwa v0, v46, v0 dst_sel:DWORD dst_unused:UNUSED_PAD src0_sel:WORD_1 src1_sel:DWORD
	v_fma_f16 v46, v46, v141, v0
	v_lshrrev_b32_e32 v0, 16, v3
	v_mul_f16_sdwa v2, v32, v3 dst_sel:DWORD dst_unused:UNUSED_PAD src0_sel:WORD_1 src1_sel:DWORD
	v_mul_f16_sdwa v1, v32, v0 dst_sel:DWORD dst_unused:UNUSED_PAD src0_sel:WORD_1 src1_sel:DWORD
	v_fma_f16 v0, v32, v0, -v2
	v_lshrrev_b32_e32 v2, 16, v140
	v_fma_f16 v1, v32, v3, v1
	v_mul_f16_sdwa v3, v33, v2 dst_sel:DWORD dst_unused:UNUSED_PAD src0_sel:WORD_1 src1_sel:DWORD
	v_fma_f16 v44, v33, v140, v3
	v_mul_f16_sdwa v3, v33, v140 dst_sel:DWORD dst_unused:UNUSED_PAD src0_sel:WORD_1 src1_sel:DWORD
	v_fma_f16 v32, v33, v2, -v3
	v_lshrrev_b32_e32 v2, 16, v142
	v_mul_f16_sdwa v3, v34, v2 dst_sel:DWORD dst_unused:UNUSED_PAD src0_sel:WORD_1 src1_sel:DWORD
	v_mul_f16_sdwa v33, v34, v142 dst_sel:DWORD dst_unused:UNUSED_PAD src0_sel:WORD_1 src1_sel:DWORD
	v_fma_f16 v3, v34, v142, v3
	v_fma_f16 v2, v34, v2, -v33
	v_lshrrev_b32_e32 v34, 16, v143
	v_mul_f16_sdwa v33, v35, v143 dst_sel:DWORD dst_unused:UNUSED_PAD src0_sel:WORD_1 src1_sel:DWORD
	v_fma_f16 v33, v35, v34, -v33
	v_mul_f16_sdwa v34, v35, v34 dst_sel:DWORD dst_unused:UNUSED_PAD src0_sel:WORD_1 src1_sel:DWORD
	v_fma_f16 v34, v35, v143, v34
	v_lshrrev_b32_e32 v35, 16, v144
	v_mul_f16_sdwa v140, v158, v35 dst_sel:DWORD dst_unused:UNUSED_PAD src0_sel:WORD_1 src1_sel:DWORD
	v_fma_f16 v141, v158, v144, v140
	v_mul_f16_sdwa v140, v158, v144 dst_sel:DWORD dst_unused:UNUSED_PAD src0_sel:WORD_1 src1_sel:DWORD
	v_fma_f16 v140, v158, v35, -v140
	v_sub_f16_e32 v35, v80, v82
	v_sub_f16_e32 v142, v139, v89
	v_add_f16_e32 v35, v35, v142
	v_sub_f16_e32 v142, v77, v81
	v_sub_f16_e32 v143, v91, v86
	v_add_f16_e32 v142, v142, v143
	;; [unrolled: 3-line block ×4, first 2 shown]
	v_add_f16_e32 v143, v84, v87
	v_fma_f16 v149, v143, -0.5, v75
	v_sub_f16_e32 v150, v76, v140
	v_fma_f16 v143, v150, s13, v149
	v_sub_f16_e32 v151, v83, v85
	v_fma_f16 v143, v151, s14, v143
	v_fma_f16 v145, v147, s7, v143
	v_add_f16_e32 v143, v83, v85
	v_fma_f16 v152, v143, -0.5, v74
	v_sub_f16_e32 v153, v78, v141
	v_fma_f16 v143, v153, s12, v152
	v_sub_f16_e32 v154, v84, v87
	v_fma_f16 v143, v154, s6, v143
	v_fma_f16 v146, v148, s7, v143
	ds_read2_b32 v[143:144], v136 offset1:108
	v_mul_f16_e32 v155, 0xb8b4, v146
	v_mul_f16_e32 v146, 0x3a79, v146
	v_fma_f16 v155, v145, s15, v155
	v_fma_f16 v156, v145, s6, v146
	s_waitcnt lgkmcnt(0)
	v_add_f16_e32 v145, v143, v80
	v_add_f16_e32 v145, v145, v82
	;; [unrolled: 1-line block ×3, first 2 shown]
	v_lshrrev_b32_e32 v159, 16, v143
	v_add_f16_e32 v158, v145, v139
	v_add_f16_e32 v145, v159, v77
	;; [unrolled: 1-line block ×15, first 2 shown]
	v_pack_b32_f16 v164, v145, v146
	v_add_f16_e32 v145, v82, v89
	v_sub_f16_e32 v195, v80, v139
	v_sub_f16_e32 v196, v82, v89
	v_sub_f16_e32 v82, v82, v80
	v_add_f16_e32 v80, v80, v139
	v_sub_f16_e32 v168, v81, v86
	v_sub_f16_e32 v89, v89, v139
	v_fma_f16 v80, v80, -0.5, v143
	v_fma_f16 v165, v145, -0.5, v143
	v_sub_f16_e32 v167, v77, v91
	v_add_f16_e32 v82, v82, v89
	v_fma_f16 v89, v168, s12, v80
	v_fma_f16 v80, v168, s13, v80
	;; [unrolled: 1-line block ×8, first 2 shown]
	v_add_f16_e32 v82, v77, v91
	v_fma_f16 v170, v35, s7, v145
	v_add_f16_e32 v145, v81, v86
	v_fma_f16 v82, v82, -0.5, v159
	v_sub_f16_e32 v77, v81, v77
	v_sub_f16_e32 v81, v86, v91
	v_add_f16_e32 v77, v77, v81
	v_fma_f16 v81, v196, s13, v82
	v_fma_f16 v82, v196, s12, v82
	v_fma_f16 v81, v195, s6, v81
	v_fma_f16 v82, v195, s14, v82
	v_fma_f16 v81, v77, s7, v81
	v_fma_f16 v77, v77, s7, v82
	v_add_f16_e32 v82, v78, v141
	v_fma_f16 v75, v82, -0.5, v75
	v_sub_f16_e32 v78, v84, v78
	v_sub_f16_e32 v82, v87, v141
	v_add_f16_e32 v78, v78, v82
	v_fma_f16 v82, v151, s12, v75
	v_fma_f16 v75, v151, s13, v75
	v_fma_f16 v82, v150, s14, v82
	v_fma_f16 v75, v150, s6, v75
	v_fma_f16 v82, v78, s7, v82
	;; [unrolled: 11-line block ×3, first 2 shown]
	v_fma_f16 v171, v145, -0.5, v159
	v_fma_f16 v74, v76, s7, v74
	v_mul_f16_e32 v76, 0xbb9c, v78
	v_mul_f16_e32 v78, 0x34f2, v78
	v_fma_f16 v145, v195, s12, v171
	v_fma_f16 v76, v82, s7, v76
	;; [unrolled: 1-line block ×3, first 2 shown]
	v_mul_f16_e32 v82, 0xbb9c, v74
	v_mul_f16_e32 v74, 0xb4f2, v74
	v_fma_f16 v145, v196, s6, v145
	v_fma_f16 v82, v75, s2, v82
	;; [unrolled: 1-line block ×3, first 2 shown]
	v_add_f16_e32 v75, v89, v76
	v_add_f16_e32 v83, v81, v78
	v_fma_f16 v197, v142, s7, v145
	v_pack_b32_f16 v75, v75, v83
	v_add_f16_e32 v83, v80, v82
	v_add_f16_e32 v84, v77, v74
	;; [unrolled: 1-line block ×4, first 2 shown]
	v_pack_b32_f16 v83, v83, v84
	v_pack_b32_f16 v198, v145, v146
	ds_read2_b32 v[145:146], v104 offset0:80 offset1:188
	s_waitcnt lgkmcnt(0)
	s_barrier
	ds_write2_b32 v161, v75, v83 offset0:18 offset1:27
	v_fma_f16 v75, v167, s12, v165
	v_fma_f16 v84, v153, s13, v152
	;; [unrolled: 1-line block ×11, first 2 shown]
	v_mul_f16_e32 v85, 0xb8b4, v84
	v_mul_f16_e32 v84, 0xba79, v84
	v_fma_f16 v75, v142, s7, v75
	v_fma_f16 v85, v83, s3, v85
	;; [unrolled: 1-line block ×3, first 2 shown]
	v_sub_f16_e32 v84, v158, v162
	v_sub_f16_e32 v86, v160, v163
	v_add_f16_e32 v87, v35, v85
	v_add_f16_e32 v91, v75, v83
	v_pack_b32_f16 v87, v87, v91
	v_pack_b32_f16 v84, v84, v86
	ds_write2_b32 v161, v87, v84 offset0:36 offset1:45
	v_sub_f16_e32 v84, v170, v155
	v_sub_f16_e32 v76, v89, v76
	;; [unrolled: 1-line block ×4, first 2 shown]
	v_pack_b32_f16 v81, v84, v86
	v_pack_b32_f16 v76, v76, v78
	ds_write2_b32 v161, v81, v76 offset0:54 offset1:63
	v_sub_f16_e32 v76, v80, v82
	v_sub_f16_e32 v35, v35, v85
	v_sub_f16_e32 v74, v77, v74
	v_sub_f16_e32 v75, v75, v83
	v_pack_b32_f16 v74, v76, v74
	v_pack_b32_f16 v35, v35, v75
	ds_write2_b32 v161, v74, v35 offset0:72 offset1:81
	v_lshrrev_b32_e32 v35, 16, v145
	v_mul_f16_sdwa v74, v166, v145 dst_sel:DWORD dst_unused:UNUSED_PAD src0_sel:WORD_1 src1_sel:DWORD
	v_fma_f16 v74, v166, v35, -v74
	v_mul_f16_sdwa v35, v166, v35 dst_sel:DWORD dst_unused:UNUSED_PAD src0_sel:WORD_1 src1_sel:DWORD
	v_sub_f16_e32 v80, v69, v73
	v_sub_f16_e32 v81, v79, v49
	v_fma_f16 v35, v166, v145, v35
	v_add_f16_e32 v80, v80, v81
	v_sub_f16_e32 v81, v66, v71
	v_sub_f16_e32 v82, v51, v48
	v_add_f16_e32 v81, v81, v82
	v_sub_f16_e32 v82, v72, v50
	v_sub_f16_e32 v83, v35, v46
	;; [unrolled: 3-line block ×3, first 2 shown]
	v_add_f16_e32 v89, v45, v47
	v_add_f16_e32 v83, v83, v84
	;; [unrolled: 1-line block ×3, first 2 shown]
	v_fma_f16 v89, v89, -0.5, v67
	v_sub_f16_e32 v91, v72, v35
	v_fma_f16 v84, v84, -0.5, v70
	v_sub_f16_e32 v85, v68, v74
	v_fma_f16 v139, v91, s12, v89
	v_sub_f16_e32 v140, v50, v46
	v_fma_f16 v86, v85, s13, v84
	;; [unrolled: 2-line block ×3, first 2 shown]
	v_fma_f16 v86, v87, s14, v86
	v_fma_f16 v139, v83, s7, v139
	v_lshrrev_b32_e32 v77, 16, v144
	v_fma_f16 v86, v82, s7, v86
	v_mul_f16_e32 v141, 0xb8b4, v139
	v_mul_f16_e32 v139, 0x3a79, v139
	v_add_f16_e32 v78, v144, v69
	v_fma_f16 v141, v86, s15, v141
	v_fma_f16 v86, v86, s6, v139
	v_add_f16_e32 v139, v77, v66
	v_add_f16_e32 v142, v70, v72
	;; [unrolled: 1-line block ×17, first 2 shown]
	v_fma_f16 v75, v75, -0.5, v144
	v_fma_f16 v76, v76, -0.5, v144
	v_add_f16_e32 v144, v78, v142
	v_add_f16_e32 v145, v139, v143
	v_sub_f16_e32 v148, v71, v48
	v_sub_f16_e32 v150, v69, v79
	;; [unrolled: 1-line block ×5, first 2 shown]
	v_pack_b32_f16 v144, v144, v145
	v_sub_f16_e32 v145, v66, v51
	v_add_f16_e32 v49, v69, v49
	v_fma_f16 v69, v148, s12, v76
	v_fma_f16 v73, v148, s13, v76
	v_fma_f16 v69, v145, s14, v69
	v_fma_f16 v73, v145, s6, v73
	v_fma_f16 v69, v49, s7, v69
	v_fma_f16 v49, v49, s7, v73
	v_add_f16_e32 v73, v66, v51
	v_add_f16_e32 v149, v71, v48
	v_fma_f16 v73, v73, -0.5, v77
	v_sub_f16_e32 v66, v71, v66
	v_sub_f16_e32 v48, v48, v51
	v_add_f16_e32 v48, v66, v48
	v_fma_f16 v51, v152, s13, v73
	v_fma_f16 v66, v152, s12, v73
	v_fma_f16 v51, v150, s6, v51
	v_fma_f16 v66, v150, s14, v66
	v_fma_f16 v51, v48, s7, v51
	v_fma_f16 v48, v48, s7, v66
	v_add_f16_e32 v66, v72, v35
	v_fma_f16 v66, v66, -0.5, v70
	v_sub_f16_e32 v50, v50, v72
	v_sub_f16_e32 v35, v46, v35
	v_add_f16_e32 v35, v50, v35
	v_fma_f16 v46, v87, s12, v66
	v_fma_f16 v50, v87, s13, v66
	v_fma_f16 v46, v85, s14, v46
	v_fma_f16 v50, v85, s6, v50
	v_fma_f16 v46, v35, s7, v46
	v_fma_f16 v35, v35, s7, v50
	;; [unrolled: 11-line block ×3, first 2 shown]
	v_mul_f16_e32 v50, 0xbb9c, v47
	v_mul_f16_e32 v47, 0x34f2, v47
	v_fma_f16 v50, v46, s7, v50
	v_fma_f16 v46, v46, s12, v47
	v_mul_f16_e32 v47, 0xbb9c, v45
	v_mul_f16_e32 v45, 0xb4f2, v45
	v_fma_f16 v47, v35, s2, v47
	v_fma_f16 v35, v35, s12, v45
	v_add_f16_e32 v45, v69, v50
	v_add_f16_e32 v66, v51, v46
	v_pack_b32_f16 v45, v45, v66
	v_add_f16_e32 v66, v49, v47
	v_add_f16_e32 v67, v48, v35
	v_fma_f16 v68, v91, s13, v89
	v_fma_f16 v149, v149, -0.5, v77
	v_pack_b32_f16 v66, v66, v67
	v_fma_f16 v67, v85, s12, v84
	v_fma_f16 v68, v140, s14, v68
	ds_write2_b32 v161, v164, v198 offset1:9
	ds_write2_b32 v169, v45, v66 offset0:18 offset1:27
	v_fma_f16 v45, v145, s12, v75
	v_fma_f16 v66, v150, s13, v149
	;; [unrolled: 1-line block ×7, first 2 shown]
	v_mul_f16_e32 v70, 0xb8b4, v68
	v_mul_f16_e32 v68, 0xba79, v68
	v_fma_f16 v147, v145, s13, v75
	v_fma_f16 v151, v150, s12, v149
	;; [unrolled: 1-line block ×8, first 2 shown]
	v_sub_f16_e32 v68, v78, v142
	v_sub_f16_e32 v71, v139, v143
	v_add_f16_e32 v72, v45, v70
	v_add_f16_e32 v73, v66, v67
	v_fma_f16 v147, v80, s7, v147
	v_fma_f16 v151, v81, s7, v151
	v_pack_b32_f16 v72, v72, v73
	v_pack_b32_f16 v68, v68, v71
	ds_write2_b32 v169, v72, v68 offset0:36 offset1:45
	v_sub_f16_e32 v68, v147, v141
	v_sub_f16_e32 v50, v69, v50
	;; [unrolled: 1-line block ×4, first 2 shown]
	v_pack_b32_f16 v51, v68, v69
	v_pack_b32_f16 v46, v50, v46
	ds_write2_b32 v169, v51, v46 offset0:54 offset1:63
	v_sub_f16_e32 v46, v49, v47
	v_sub_f16_e32 v45, v45, v70
	;; [unrolled: 1-line block ×4, first 2 shown]
	v_pack_b32_f16 v35, v46, v35
	v_pack_b32_f16 v45, v45, v47
	ds_write2_b32 v169, v35, v45 offset0:72 offset1:81
	v_lshrrev_b32_e32 v35, 16, v146
	v_mul_f16_sdwa v46, v157, v146 dst_sel:DWORD dst_unused:UNUSED_PAD src0_sel:WORD_1 src1_sel:DWORD
	v_mul_f16_sdwa v45, v157, v35 dst_sel:DWORD dst_unused:UNUSED_PAD src0_sel:WORD_1 src1_sel:DWORD
	v_fma_f16 v35, v157, v35, -v46
	v_add_f16_e32 v46, v11, v44
	v_add_f16_e32 v47, v9, v34
	v_sub_f16_e32 v50, v9, v11
	v_sub_f16_e32 v51, v34, v44
	v_fma_f16 v45, v157, v146, v45
	v_fma_f16 v46, v46, -0.5, v65
	v_fma_f16 v47, v47, -0.5, v65
	v_lshrrev_b32_e32 v48, 16, v65
	v_add_f16_e32 v49, v65, v9
	v_add_f16_e32 v50, v50, v51
	v_sub_f16_e32 v51, v8, v10
	v_sub_f16_e32 v65, v33, v32
	v_add_f16_e32 v51, v51, v65
	v_sub_f16_e32 v65, v7, v1
	v_sub_f16_e32 v66, v45, v3
	;; [unrolled: 3-line block ×3, first 2 shown]
	v_add_f16_e32 v71, v0, v2
	v_add_f16_e32 v66, v66, v67
	;; [unrolled: 1-line block ×3, first 2 shown]
	v_fma_f16 v71, v71, -0.5, v4
	v_sub_f16_e32 v72, v7, v45
	v_fma_f16 v67, v67, -0.5, v5
	v_sub_f16_e32 v68, v6, v35
	v_fma_f16 v73, v72, s12, v71
	v_sub_f16_e32 v74, v1, v3
	v_fma_f16 v69, v68, s13, v67
	;; [unrolled: 2-line block ×3, first 2 shown]
	v_fma_f16 v69, v70, s14, v69
	v_fma_f16 v73, v66, s7, v73
	;; [unrolled: 1-line block ×3, first 2 shown]
	v_mul_f16_e32 v75, 0xb8b4, v73
	v_mul_f16_e32 v73, 0x3a79, v73
	v_fma_f16 v75, v69, s15, v75
	v_fma_f16 v69, v69, s6, v73
	v_add_f16_e32 v73, v48, v8
	v_add_f16_e32 v76, v5, v7
	;; [unrolled: 1-line block ×17, first 2 shown]
	v_sub_f16_e32 v81, v10, v32
	v_sub_f16_e32 v83, v9, v34
	v_sub_f16_e32 v85, v11, v44
	v_sub_f16_e32 v9, v11, v9
	v_sub_f16_e32 v11, v44, v34
	v_pack_b32_f16 v78, v78, v79
	v_sub_f16_e32 v79, v8, v33
	v_add_f16_e32 v9, v9, v11
	v_fma_f16 v11, v81, s12, v47
	v_fma_f16 v34, v81, s13, v47
	;; [unrolled: 1-line block ×6, first 2 shown]
	v_add_f16_e32 v34, v8, v33
	v_add_f16_e32 v82, v10, v32
	v_fma_f16 v34, v34, -0.5, v48
	v_sub_f16_e32 v8, v10, v8
	v_sub_f16_e32 v10, v32, v33
	v_add_f16_e32 v8, v8, v10
	v_fma_f16 v10, v85, s13, v34
	v_fma_f16 v32, v85, s12, v34
	v_fma_f16 v10, v83, s6, v10
	v_fma_f16 v32, v83, s14, v32
	v_fma_f16 v10, v8, s7, v10
	v_fma_f16 v8, v8, s7, v32
	v_add_f16_e32 v32, v7, v45
	v_fma_f16 v5, v32, -0.5, v5
	v_sub_f16_e32 v1, v1, v7
	v_sub_f16_e32 v3, v3, v45
	v_add_f16_e32 v1, v1, v3
	v_fma_f16 v3, v70, s12, v5
	v_fma_f16 v5, v70, s13, v5
	v_fma_f16 v3, v68, s14, v3
	v_fma_f16 v5, v68, s6, v5
	v_fma_f16 v3, v1, s7, v3
	v_fma_f16 v1, v1, s7, v5
	;; [unrolled: 11-line block ×3, first 2 shown]
	v_mul_f16_e32 v4, 0xbb9c, v2
	v_mul_f16_e32 v2, 0x34f2, v2
	v_fma_f16 v4, v3, s7, v4
	v_fma_f16 v2, v3, s12, v2
	v_mul_f16_e32 v3, 0xbb9c, v0
	v_mul_f16_e32 v0, 0xb4f2, v0
	v_fma_f16 v3, v1, s2, v3
	v_fma_f16 v0, v1, s12, v0
	v_add_f16_e32 v1, v11, v4
	v_add_f16_e32 v5, v10, v2
	;; [unrolled: 1-line block ×4, first 2 shown]
	v_pack_b32_f16 v1, v1, v5
	v_add_f16_e32 v5, v9, v3
	v_add_f16_e32 v6, v8, v0
	v_fma_f16 v7, v72, s13, v71
	v_pack_b32_f16 v153, v153, v154
	v_fma_f16 v82, v82, -0.5, v48
	v_pack_b32_f16 v5, v5, v6
	v_fma_f16 v6, v68, s12, v67
	v_fma_f16 v7, v74, s14, v7
	ds_write2_b32 v169, v144, v153 offset1:9
	ds_write2_b32 v173, v1, v5 offset0:18 offset1:27
	v_fma_f16 v1, v79, s12, v46
	v_fma_f16 v5, v83, s13, v82
	;; [unrolled: 1-line block ×7, first 2 shown]
	v_mul_f16_e32 v32, 0xb8b4, v7
	v_mul_f16_e32 v7, 0xba79, v7
	v_fma_f16 v80, v79, s13, v46
	v_fma_f16 v84, v83, s12, v82
	;; [unrolled: 1-line block ×8, first 2 shown]
	v_sub_f16_e32 v7, v49, v76
	v_sub_f16_e32 v33, v73, v77
	v_add_f16_e32 v34, v1, v32
	v_add_f16_e32 v35, v5, v6
	v_fma_f16 v80, v50, s7, v80
	v_fma_f16 v84, v51, s7, v84
	v_pack_b32_f16 v34, v34, v35
	v_pack_b32_f16 v7, v7, v33
	ds_write2_b32 v173, v34, v7 offset0:36 offset1:45
	v_sub_f16_e32 v7, v80, v75
	v_sub_f16_e32 v4, v11, v4
	v_sub_f16_e32 v11, v84, v69
	v_sub_f16_e32 v2, v10, v2
	v_pack_b32_f16 v7, v7, v11
	v_pack_b32_f16 v2, v4, v2
	v_add_f16_e32 v86, v80, v75
	v_add_f16_e32 v87, v84, v69
	ds_write2_b32 v173, v7, v2 offset0:54 offset1:63
	v_sub_f16_e32 v2, v9, v3
	v_sub_f16_e32 v1, v1, v32
	;; [unrolled: 1-line block ×4, first 2 shown]
	v_pack_b32_f16 v86, v86, v87
	v_pack_b32_f16 v0, v2, v0
	v_pack_b32_f16 v1, v1, v3
	ds_write2_b32 v173, v78, v86 offset1:9
	ds_write2_b32 v173, v0, v1 offset0:72 offset1:81
	s_waitcnt lgkmcnt(0)
	s_barrier
	ds_read2_b32 v[0:1], v121 offset0:48 offset1:156
	ds_read2_b32 v[2:3], v138 offset0:56 offset1:164
	;; [unrolled: 1-line block ×3, first 2 shown]
	s_mov_b32 s2, 0x30abee4d
	s_mov_b32 s3, 0x3f343a27
	s_waitcnt lgkmcnt(2)
	v_lshrrev_b32_e32 v4, 16, v1
	v_mul_f16_sdwa v5, v12, v1 dst_sel:DWORD dst_unused:UNUSED_PAD src0_sel:WORD_1 src1_sel:DWORD
	v_fma_f16 v11, v12, v4, -v5
	v_mul_f16_sdwa v4, v12, v4 dst_sel:DWORD dst_unused:UNUSED_PAD src0_sel:WORD_1 src1_sel:DWORD
	v_fma_f16 v12, v12, v1, v4
	s_waitcnt lgkmcnt(1)
	v_lshrrev_b32_e32 v1, 16, v2
	ds_read2_b32 v[4:5], v124 offset0:104 offset1:212
	v_mul_f16_sdwa v6, v13, v2 dst_sel:DWORD dst_unused:UNUSED_PAD src0_sel:WORD_1 src1_sel:DWORD
	v_fma_f16 v32, v13, v1, -v6
	v_mul_f16_sdwa v1, v13, v1 dst_sel:DWORD dst_unused:UNUSED_PAD src0_sel:WORD_1 src1_sel:DWORD
	v_fma_f16 v13, v13, v2, v1
	ds_read2_b32 v[1:2], v137 offset0:112 offset1:220
	s_waitcnt lgkmcnt(1)
	v_lshrrev_b32_e32 v6, 16, v5
	v_mul_f16_sdwa v7, v14, v5 dst_sel:DWORD dst_unused:UNUSED_PAD src0_sel:WORD_1 src1_sel:DWORD
	v_fma_f16 v33, v14, v6, -v7
	v_mul_f16_sdwa v6, v14, v6 dst_sel:DWORD dst_unused:UNUSED_PAD src0_sel:WORD_1 src1_sel:DWORD
	v_fma_f16 v14, v14, v5, v6
	s_waitcnt lgkmcnt(0)
	v_lshrrev_b32_e32 v5, 16, v1
	v_mul_f16_sdwa v6, v15, v1 dst_sel:DWORD dst_unused:UNUSED_PAD src0_sel:WORD_1 src1_sel:DWORD
	v_fma_f16 v34, v15, v5, -v6
	v_mul_f16_sdwa v5, v15, v5 dst_sel:DWORD dst_unused:UNUSED_PAD src0_sel:WORD_1 src1_sel:DWORD
	v_fma_f16 v15, v15, v1, v5
	v_lshrrev_b32_e32 v1, 16, v3
	v_mul_f16_sdwa v5, v41, v1 dst_sel:DWORD dst_unused:UNUSED_PAD src0_sel:WORD_1 src1_sel:DWORD
	v_fma_f16 v35, v41, v3, v5
	v_mul_f16_sdwa v3, v41, v3 dst_sel:DWORD dst_unused:UNUSED_PAD src0_sel:WORD_1 src1_sel:DWORD
	v_fma_f16 v41, v41, v1, -v3
	v_lshrrev_b32_e32 v1, 16, v2
	ds_read2_b32 v[5:6], v111 offset0:136 offset1:244
	v_mul_f16_sdwa v3, v43, v1 dst_sel:DWORD dst_unused:UNUSED_PAD src0_sel:WORD_1 src1_sel:DWORD
	v_fma_f16 v44, v43, v2, v3
	v_mul_f16_sdwa v2, v43, v2 dst_sel:DWORD dst_unused:UNUSED_PAD src0_sel:WORD_1 src1_sel:DWORD
	v_fma_f16 v43, v43, v1, -v2
	ds_read2_b32 v[1:2], v115 offset0:64 offset1:172
	s_waitcnt lgkmcnt(1)
	v_lshrrev_b32_e32 v3, 16, v5
	v_mul_f16_sdwa v7, v40, v5 dst_sel:DWORD dst_unused:UNUSED_PAD src0_sel:WORD_1 src1_sel:DWORD
	v_fma_f16 v45, v40, v3, -v7
	v_mul_f16_sdwa v3, v40, v3 dst_sel:DWORD dst_unused:UNUSED_PAD src0_sel:WORD_1 src1_sel:DWORD
	v_fma_f16 v40, v40, v5, v3
	s_waitcnt lgkmcnt(0)
	v_lshrrev_b32_e32 v3, 16, v1
	v_mul_f16_sdwa v5, v42, v1 dst_sel:DWORD dst_unused:UNUSED_PAD src0_sel:WORD_1 src1_sel:DWORD
	v_fma_f16 v46, v42, v3, -v5
	v_mul_f16_sdwa v3, v42, v3 dst_sel:DWORD dst_unused:UNUSED_PAD src0_sel:WORD_1 src1_sel:DWORD
	v_fma_f16 v42, v42, v1, v3
	v_lshrrev_b32_e32 v1, 16, v6
	v_mul_f16_sdwa v3, v36, v1 dst_sel:DWORD dst_unused:UNUSED_PAD src0_sel:WORD_1 src1_sel:DWORD
	v_fma_f16 v47, v36, v6, v3
	v_mul_f16_sdwa v3, v36, v6 dst_sel:DWORD dst_unused:UNUSED_PAD src0_sel:WORD_1 src1_sel:DWORD
	v_fma_f16 v36, v36, v1, -v3
	v_lshrrev_b32_e32 v1, 16, v2
	ds_read2_b32 v[5:6], v130 offset0:16 offset1:124
	v_mul_f16_sdwa v3, v38, v1 dst_sel:DWORD dst_unused:UNUSED_PAD src0_sel:WORD_1 src1_sel:DWORD
	v_fma_f16 v48, v38, v2, v3
	v_mul_f16_sdwa v2, v38, v2 dst_sel:DWORD dst_unused:UNUSED_PAD src0_sel:WORD_1 src1_sel:DWORD
	v_fma_f16 v38, v38, v1, -v2
	ds_read2_b32 v[1:2], v133 offset0:72 offset1:180
	s_waitcnt lgkmcnt(1)
	v_lshrrev_b32_e32 v3, 16, v5
	v_mul_f16_sdwa v7, v37, v5 dst_sel:DWORD dst_unused:UNUSED_PAD src0_sel:WORD_1 src1_sel:DWORD
	v_fma_f16 v49, v37, v3, -v7
	v_mul_f16_sdwa v3, v37, v3 dst_sel:DWORD dst_unused:UNUSED_PAD src0_sel:WORD_1 src1_sel:DWORD
	v_fma_f16 v37, v37, v5, v3
	s_waitcnt lgkmcnt(0)
	v_lshrrev_b32_e32 v3, 16, v1
	v_mul_f16_sdwa v5, v39, v1 dst_sel:DWORD dst_unused:UNUSED_PAD src0_sel:WORD_1 src1_sel:DWORD
	v_fma_f16 v50, v39, v3, -v5
	v_mul_f16_sdwa v3, v39, v3 dst_sel:DWORD dst_unused:UNUSED_PAD src0_sel:WORD_1 src1_sel:DWORD
	v_fma_f16 v39, v39, v1, v3
	v_lshrrev_b32_e32 v1, 16, v6
	v_mul_f16_sdwa v3, v29, v1 dst_sel:DWORD dst_unused:UNUSED_PAD src0_sel:WORD_1 src1_sel:DWORD
	v_fma_f16 v51, v29, v6, v3
	v_mul_f16_sdwa v3, v29, v6 dst_sel:DWORD dst_unused:UNUSED_PAD src0_sel:WORD_1 src1_sel:DWORD
	ds_read2_b32 v[5:6], v102 offset0:96 offset1:204
	v_fma_f16 v29, v29, v1, -v3
	v_lshrrev_b32_e32 v1, 16, v2
	ds_read2_b32 v[7:8], v106 offset0:24 offset1:132
	v_mul_f16_sdwa v3, v31, v1 dst_sel:DWORD dst_unused:UNUSED_PAD src0_sel:WORD_1 src1_sel:DWORD
	v_fma_f16 v65, v31, v2, v3
	v_mul_f16_sdwa v2, v31, v2 dst_sel:DWORD dst_unused:UNUSED_PAD src0_sel:WORD_1 src1_sel:DWORD
	v_fma_f16 v31, v31, v1, -v2
	s_waitcnt lgkmcnt(1)
	v_lshrrev_b32_e32 v1, 16, v5
	v_mul_f16_sdwa v2, v28, v5 dst_sel:DWORD dst_unused:UNUSED_PAD src0_sel:WORD_1 src1_sel:DWORD
	v_fma_f16 v66, v28, v1, -v2
	v_mul_f16_sdwa v1, v28, v1 dst_sel:DWORD dst_unused:UNUSED_PAD src0_sel:WORD_1 src1_sel:DWORD
	v_fma_f16 v28, v28, v5, v1
	s_waitcnt lgkmcnt(0)
	v_lshrrev_b32_e32 v1, 16, v7
	v_mul_f16_sdwa v2, v30, v7 dst_sel:DWORD dst_unused:UNUSED_PAD src0_sel:WORD_1 src1_sel:DWORD
	v_fma_f16 v67, v30, v1, -v2
	v_mul_f16_sdwa v1, v30, v1 dst_sel:DWORD dst_unused:UNUSED_PAD src0_sel:WORD_1 src1_sel:DWORD
	v_lshrrev_b32_e32 v2, 16, v6
	v_mul_f16_sdwa v3, v24, v6 dst_sel:DWORD dst_unused:UNUSED_PAD src0_sel:WORD_1 src1_sel:DWORD
	v_lshrrev_b32_e32 v5, 16, v4
	v_fma_f16 v30, v30, v7, v1
	v_mul_f16_sdwa v1, v24, v2 dst_sel:DWORD dst_unused:UNUSED_PAD src0_sel:WORD_1 src1_sel:DWORD
	v_fma_f16 v2, v24, v2, -v3
	v_mul_f16_sdwa v3, v25, v5 dst_sel:DWORD dst_unused:UNUSED_PAD src0_sel:WORD_1 src1_sel:DWORD
	v_fma_f16 v1, v24, v6, v1
	v_fma_f16 v3, v25, v4, v3
	v_mul_f16_sdwa v4, v25, v4 dst_sel:DWORD dst_unused:UNUSED_PAD src0_sel:WORD_1 src1_sel:DWORD
	v_lshrrev_b32_e32 v6, 16, v8
	v_fma_f16 v5, v25, v5, -v4
	v_mul_f16_sdwa v4, v26, v6 dst_sel:DWORD dst_unused:UNUSED_PAD src0_sel:WORD_1 src1_sel:DWORD
	v_mul_f16_sdwa v7, v26, v8 dst_sel:DWORD dst_unused:UNUSED_PAD src0_sel:WORD_1 src1_sel:DWORD
	v_fma_f16 v4, v26, v8, v4
	v_fma_f16 v6, v26, v6, -v7
	v_lshrrev_b32_e32 v7, 16, v9
	v_mul_f16_sdwa v8, v27, v9 dst_sel:DWORD dst_unused:UNUSED_PAD src0_sel:WORD_1 src1_sel:DWORD
	v_fma_f16 v24, v27, v7, -v8
	v_mul_f16_sdwa v7, v27, v7 dst_sel:DWORD dst_unused:UNUSED_PAD src0_sel:WORD_1 src1_sel:DWORD
	v_fma_f16 v25, v27, v9, v7
	ds_read2_b32 v[7:8], v136 offset1:108
	v_lshrrev_b32_e32 v9, 16, v10
	v_mul_f16_sdwa v26, v175, v9 dst_sel:DWORD dst_unused:UNUSED_PAD src0_sel:WORD_1 src1_sel:DWORD
	v_fma_f16 v26, v175, v10, v26
	v_mul_f16_sdwa v10, v175, v10 dst_sel:DWORD dst_unused:UNUSED_PAD src0_sel:WORD_1 src1_sel:DWORD
	v_fma_f16 v9, v175, v9, -v10
	s_waitcnt lgkmcnt(0)
	v_lshrrev_b32_e32 v10, 16, v7
	v_add_f16_e32 v27, v10, v32
	v_sub_f16_e32 v68, v32, v34
	v_add_f16_e32 v32, v32, v34
	v_fma_f16 v32, v32, -0.5, v10
	v_add_f16_e32 v10, v7, v13
	v_add_f16_e32 v27, v27, v34
	;; [unrolled: 1-line block ×4, first 2 shown]
	v_sub_f16_e32 v15, v13, v15
	v_add_f16_e32 v13, v11, v33
	v_add_f16_e32 v69, v13, v9
	v_sub_f16_e32 v70, v33, v9
	v_add_f16_e32 v9, v33, v9
	v_fma_f16 v33, v9, -0.5, v11
	v_add_f16_e32 v9, v14, v26
	v_fma_f16 v71, v9, -0.5, v12
	v_add_f16_e32 v9, v12, v14
	v_add_f16_e32 v72, v9, v26
	v_sub_f16_e32 v26, v14, v26
	v_fma_f16 v11, v26, s0, v33
	v_fma_f16 v26, v26, s1, v33
	;; [unrolled: 1-line block ×3, first 2 shown]
	v_mul_f16_e32 v12, 0xbaee, v11
	v_mul_f16_e32 v11, 0.5, v11
	v_fma_f16 v7, v10, -0.5, v7
	v_fma_f16 v77, v15, s0, v32
	v_fma_f16 v15, v15, s1, v32
	;; [unrolled: 1-line block ×3, first 2 shown]
	v_mul_f16_e32 v33, 0xbaee, v26
	v_mul_f16_e32 v26, -0.5, v26
	v_fma_f16 v73, v9, 0.5, v12
	v_fma_f16 v74, v9, s0, v11
	v_add_f16_e32 v9, v34, v72
	v_add_f16_e32 v11, v27, v69
	v_fma_f16 v76, v68, s1, v7
	v_fma_f16 v7, v68, s0, v7
	v_fma_f16 v33, v32, -0.5, v33
	v_fma_f16 v26, v32, s0, v26
	v_pack_b32_f16 v75, v9, v11
	v_add_f16_e32 v9, v76, v73
	v_add_f16_e32 v10, v77, v74
	v_sub_f16_e32 v32, v34, v72
	v_sub_f16_e32 v27, v27, v69
	v_add_f16_e32 v34, v7, v33
	v_add_f16_e32 v68, v15, v26
	v_pack_b32_f16 v78, v9, v10
	ds_read2_b32 v[9:10], v112 offset0:120 offset1:228
	ds_read2_b32 v[11:12], v134 offset0:88 offset1:196
	;; [unrolled: 1-line block ×3, first 2 shown]
	v_pack_b32_f16 v34, v34, v68
	v_pack_b32_f16 v27, v32, v27
	s_waitcnt lgkmcnt(0)
	s_barrier
	ds_write2_b32 v181, v34, v27 offset0:52 offset1:142
	v_sub_f16_e32 v27, v76, v73
	v_sub_f16_e32 v7, v7, v33
	;; [unrolled: 1-line block ×4, first 2 shown]
	v_pack_b32_f16 v26, v27, v32
	v_pack_b32_f16 v7, v7, v15
	ds_write2_b32 v182, v26, v7 offset0:104 offset1:194
	v_lshrrev_b32_e32 v7, 16, v9
	v_mul_f16_sdwa v15, v177, v9 dst_sel:DWORD dst_unused:UNUSED_PAD src0_sel:WORD_1 src1_sel:DWORD
	v_fma_f16 v15, v177, v7, -v15
	v_mul_f16_sdwa v7, v177, v7 dst_sel:DWORD dst_unused:UNUSED_PAD src0_sel:WORD_1 src1_sel:DWORD
	v_fma_f16 v7, v177, v9, v7
	v_lshrrev_b32_e32 v26, 16, v8
	v_add_f16_e32 v9, v35, v44
	v_add_f16_e32 v27, v26, v41
	v_sub_f16_e32 v32, v41, v43
	v_add_f16_e32 v33, v41, v43
	v_add_f16_e32 v34, v45, v46
	;; [unrolled: 1-line block ×3, first 2 shown]
	v_fma_f16 v9, v9, -0.5, v8
	v_add_f16_e32 v8, v8, v35
	v_fma_f16 v26, v33, -0.5, v26
	v_sub_f16_e32 v33, v35, v44
	v_add_f16_e32 v34, v34, v15
	v_sub_f16_e32 v35, v46, v15
	v_add_f16_e32 v15, v46, v15
	v_fma_f16 v41, v41, -0.5, v40
	v_add_f16_e32 v40, v40, v42
	v_fma_f16 v15, v15, -0.5, v45
	v_add_f16_e32 v40, v40, v7
	v_sub_f16_e32 v7, v42, v7
	v_add_f16_e32 v27, v27, v43
	v_fma_f16 v43, v7, s0, v15
	v_add_f16_e32 v8, v8, v44
	v_fma_f16 v42, v35, s1, v41
	v_mul_f16_e32 v44, 0xbaee, v43
	v_mul_f16_e32 v43, 0.5, v43
	v_fma_f16 v44, v42, 0.5, v44
	v_fma_f16 v42, v42, s0, v43
	v_add_f16_e32 v43, v8, v40
	v_add_f16_e32 v45, v27, v34
	v_fma_f16 v7, v7, s1, v15
	v_pack_b32_f16 v43, v43, v45
	v_fma_f16 v45, v32, s1, v9
	v_fma_f16 v9, v32, s0, v9
	;; [unrolled: 1-line block ×3, first 2 shown]
	v_mul_f16_e32 v15, 0xbaee, v7
	v_mul_f16_e32 v7, -0.5, v7
	v_fma_f16 v46, v33, s0, v26
	v_fma_f16 v26, v33, s1, v26
	v_fma_f16 v15, v32, -0.5, v15
	v_fma_f16 v7, v32, s0, v7
	v_sub_f16_e32 v8, v8, v40
	v_sub_f16_e32 v27, v27, v34
	v_add_f16_e32 v32, v9, v15
	v_add_f16_e32 v33, v26, v7
	v_pack_b32_f16 v32, v32, v33
	v_pack_b32_f16 v8, v8, v27
	ds_write2_b32 v180, v75, v78 offset1:90
	ds_write2_b32 v184, v32, v8 offset0:52 offset1:142
	v_sub_f16_e32 v8, v45, v44
	v_sub_f16_e32 v9, v9, v15
	;; [unrolled: 1-line block ×4, first 2 shown]
	v_pack_b32_f16 v8, v8, v15
	v_pack_b32_f16 v7, v9, v7
	ds_write2_b32 v185, v8, v7 offset0:104 offset1:194
	v_lshrrev_b32_e32 v7, 16, v10
	v_mul_f16_sdwa v9, v176, v10 dst_sel:DWORD dst_unused:UNUSED_PAD src0_sel:WORD_1 src1_sel:DWORD
	v_mul_f16_sdwa v8, v176, v7 dst_sel:DWORD dst_unused:UNUSED_PAD src0_sel:WORD_1 src1_sel:DWORD
	v_fma_f16 v7, v176, v7, -v9
	v_add_f16_e32 v33, v36, v38
	v_add_f16_e32 v33, v33, v7
	v_sub_f16_e32 v34, v38, v7
	v_add_f16_e32 v7, v38, v7
	v_fma_f16 v8, v176, v10, v8
	v_fma_f16 v7, v7, -0.5, v36
	v_add_f16_e32 v36, v47, v48
	v_lshrrev_b32_e32 v9, 16, v11
	v_add_f16_e32 v26, v49, v50
	v_add_f16_e32 v35, v48, v8
	;; [unrolled: 1-line block ×3, first 2 shown]
	v_sub_f16_e32 v8, v48, v8
	v_add_f16_e32 v10, v9, v49
	v_fma_f16 v9, v26, -0.5, v9
	v_add_f16_e32 v26, v11, v37
	v_add_f16_e32 v27, v37, v39
	v_fma_f16 v35, v35, -0.5, v47
	v_fma_f16 v38, v8, s0, v7
	v_add_f16_e32 v10, v10, v50
	v_sub_f16_e32 v15, v49, v50
	v_add_f16_e32 v26, v26, v39
	v_sub_f16_e32 v32, v37, v39
	v_fma_f16 v37, v34, s1, v35
	v_mul_f16_e32 v39, 0xbaee, v38
	v_mul_f16_e32 v38, 0.5, v38
	v_fma_f16 v11, v27, -0.5, v11
	v_fma_f16 v7, v8, s1, v7
	v_fma_f16 v39, v37, 0.5, v39
	v_fma_f16 v37, v37, s0, v38
	v_add_f16_e32 v38, v26, v36
	v_add_f16_e32 v40, v10, v33
	v_fma_f16 v27, v15, s1, v11
	v_fma_f16 v11, v15, s0, v11
	;; [unrolled: 1-line block ×3, first 2 shown]
	v_mul_f16_e32 v8, 0xbaee, v7
	v_mul_f16_e32 v7, -0.5, v7
	v_pack_b32_f16 v38, v38, v40
	v_fma_f16 v40, v32, s0, v9
	v_fma_f16 v9, v32, s1, v9
	v_fma_f16 v8, v15, -0.5, v8
	v_fma_f16 v7, v15, s0, v7
	v_add_f16_e32 v68, v45, v44
	v_add_f16_e32 v69, v46, v42
	v_sub_f16_e32 v15, v26, v36
	v_sub_f16_e32 v10, v10, v33
	v_add_f16_e32 v26, v11, v8
	v_add_f16_e32 v32, v9, v7
	v_pack_b32_f16 v68, v68, v69
	v_pack_b32_f16 v26, v26, v32
	;; [unrolled: 1-line block ×3, first 2 shown]
	ds_write2_b32 v183, v43, v68 offset1:90
	ds_write2_b32 v187, v26, v10 offset0:52 offset1:142
	v_sub_f16_e32 v10, v27, v39
	v_sub_f16_e32 v8, v11, v8
	;; [unrolled: 1-line block ×4, first 2 shown]
	v_pack_b32_f16 v9, v10, v11
	v_pack_b32_f16 v7, v8, v7
	ds_write2_b32 v188, v9, v7 offset0:104 offset1:194
	v_lshrrev_b32_e32 v7, 16, v13
	v_mul_f16_sdwa v8, v174, v13 dst_sel:DWORD dst_unused:UNUSED_PAD src0_sel:WORD_1 src1_sel:DWORD
	v_fma_f16 v8, v174, v7, -v8
	v_mul_f16_sdwa v7, v174, v7 dst_sel:DWORD dst_unused:UNUSED_PAD src0_sel:WORD_1 src1_sel:DWORD
	v_fma_f16 v7, v174, v13, v7
	v_add_f16_e32 v9, v51, v65
	v_lshrrev_b32_e32 v10, 16, v12
	v_fma_f16 v9, v9, -0.5, v12
	v_add_f16_e32 v11, v12, v51
	v_add_f16_e32 v12, v10, v29
	v_sub_f16_e32 v13, v29, v31
	v_add_f16_e32 v15, v29, v31
	v_add_f16_e32 v26, v66, v67
	;; [unrolled: 1-line block ×5, first 2 shown]
	v_sub_f16_e32 v27, v67, v8
	v_add_f16_e32 v8, v67, v8
	v_fma_f16 v29, v29, -0.5, v28
	v_add_f16_e32 v28, v28, v30
	v_fma_f16 v8, v8, -0.5, v66
	v_add_f16_e32 v28, v28, v7
	v_sub_f16_e32 v7, v30, v7
	v_add_f16_e32 v12, v12, v31
	v_fma_f16 v31, v7, s0, v8
	v_add_f16_e32 v11, v11, v65
	v_fma_f16 v30, v27, s1, v29
	v_mul_f16_e32 v32, 0xbaee, v31
	v_mul_f16_e32 v31, 0.5, v31
	v_fma_f16 v32, v30, 0.5, v32
	v_fma_f16 v30, v30, s0, v31
	v_add_f16_e32 v31, v11, v28
	v_add_f16_e32 v33, v12, v26
	v_fma_f16 v7, v7, s1, v8
	v_fma_f16 v10, v15, -0.5, v10
	v_sub_f16_e32 v15, v51, v65
	v_pack_b32_f16 v31, v31, v33
	v_fma_f16 v33, v13, s1, v9
	v_fma_f16 v9, v13, s0, v9
	;; [unrolled: 1-line block ×3, first 2 shown]
	v_mul_f16_e32 v8, 0xbaee, v7
	v_mul_f16_e32 v7, -0.5, v7
	v_fma_f16 v34, v15, s0, v10
	v_fma_f16 v10, v15, s1, v10
	v_fma_f16 v8, v13, -0.5, v8
	v_fma_f16 v7, v13, s0, v7
	v_add_f16_e32 v42, v40, v37
	v_sub_f16_e32 v11, v11, v28
	v_sub_f16_e32 v12, v12, v26
	v_add_f16_e32 v13, v9, v8
	v_add_f16_e32 v15, v10, v7
	v_pack_b32_f16 v41, v41, v42
	v_pack_b32_f16 v13, v13, v15
	;; [unrolled: 1-line block ×3, first 2 shown]
	ds_write2_b32 v186, v38, v41 offset1:90
	ds_write2_b32 v190, v13, v11 offset0:52 offset1:142
	v_sub_f16_e32 v11, v33, v32
	v_sub_f16_e32 v8, v9, v8
	;; [unrolled: 1-line block ×4, first 2 shown]
	v_pack_b32_f16 v9, v11, v9
	v_pack_b32_f16 v7, v8, v7
	ds_write2_b32 v191, v9, v7 offset0:104 offset1:194
	v_lshrrev_b32_e32 v7, 16, v14
	v_mul_f16_sdwa v9, v172, v14 dst_sel:DWORD dst_unused:UNUSED_PAD src0_sel:WORD_1 src1_sel:DWORD
	v_lshrrev_b32_e32 v10, 16, v0
	v_mul_f16_sdwa v8, v172, v7 dst_sel:DWORD dst_unused:UNUSED_PAD src0_sel:WORD_1 src1_sel:DWORD
	v_fma_f16 v7, v172, v7, -v9
	v_add_f16_e32 v11, v10, v5
	v_sub_f16_e32 v12, v5, v24
	v_add_f16_e32 v5, v5, v24
	v_fma_f16 v8, v172, v14, v8
	v_fma_f16 v5, v5, -0.5, v10
	v_add_f16_e32 v10, v2, v6
	v_sub_f16_e32 v13, v6, v7
	v_add_f16_e32 v6, v6, v7
	v_fma_f16 v2, v6, -0.5, v2
	v_add_f16_e32 v6, v4, v8
	v_add_f16_e32 v9, v3, v25
	v_fma_f16 v6, v6, -0.5, v1
	v_add_f16_e32 v1, v1, v4
	v_sub_f16_e32 v4, v4, v8
	v_fma_f16 v9, v9, -0.5, v0
	v_add_f16_e32 v0, v0, v3
	v_add_f16_e32 v1, v1, v8
	v_fma_f16 v8, v4, s0, v2
	v_add_f16_e32 v11, v11, v24
	v_add_f16_e32 v0, v0, v25
	;; [unrolled: 1-line block ×3, first 2 shown]
	v_fma_f16 v7, v13, s1, v6
	v_mul_f16_e32 v14, 0xbaee, v8
	v_mul_f16_e32 v8, 0.5, v8
	v_sub_f16_e32 v3, v3, v25
	v_fma_f16 v14, v7, 0.5, v14
	v_fma_f16 v7, v7, s0, v8
	v_add_f16_e32 v8, v0, v1
	v_add_f16_e32 v15, v11, v10
	v_pack_b32_f16 v8, v8, v15
	v_fma_f16 v15, v12, s1, v9
	v_fma_f16 v24, v3, s0, v5
	v_add_f16_e32 v35, v33, v32
	v_add_f16_e32 v36, v34, v30
	;; [unrolled: 1-line block ×4, first 2 shown]
	v_fma_f16 v2, v4, s1, v2
	v_pack_b32_f16 v35, v35, v36
	v_pack_b32_f16 v25, v25, v26
	v_fma_f16 v3, v3, s1, v5
	v_fma_f16 v5, v13, s0, v6
	v_mul_f16_e32 v4, 0xbaee, v2
	v_mul_f16_e32 v2, -0.5, v2
	ds_write2_b32 v189, v31, v35 offset1:90
	ds_write2_b32 v192, v8, v25 offset1:90
	v_fma_f16 v8, v12, s0, v9
	v_fma_f16 v4, v5, -0.5, v4
	v_fma_f16 v2, v5, s0, v2
	v_sub_f16_e32 v0, v0, v1
	v_sub_f16_e32 v1, v11, v10
	v_add_f16_e32 v5, v8, v4
	v_add_f16_e32 v6, v3, v2
	v_pack_b32_f16 v5, v5, v6
	v_pack_b32_f16 v0, v0, v1
	ds_write2_b32 v193, v5, v0 offset0:52 offset1:142
	v_sub_f16_e32 v0, v15, v14
	v_sub_f16_e32 v1, v8, v4
	;; [unrolled: 1-line block ×4, first 2 shown]
	v_pack_b32_f16 v0, v0, v4
	v_pack_b32_f16 v1, v1, v2
	ds_write2_b32 v194, v0, v1 offset0:104 offset1:194
	s_waitcnt lgkmcnt(0)
	s_barrier
	ds_read2_b32 v[0:1], v121 offset0:48 offset1:156
	ds_read2_b32 v[3:4], v138 offset0:56 offset1:164
	;; [unrolled: 1-line block ×5, first 2 shown]
	s_waitcnt lgkmcnt(4)
	v_lshrrev_b32_e32 v2, 16, v1
	v_mul_f16_sdwa v6, v20, v1 dst_sel:DWORD dst_unused:UNUSED_PAD src0_sel:WORD_1 src1_sel:DWORD
	v_fma_f16 v29, v20, v2, -v6
	v_mul_f16_sdwa v2, v20, v2 dst_sel:DWORD dst_unused:UNUSED_PAD src0_sel:WORD_1 src1_sel:DWORD
	s_waitcnt lgkmcnt(3)
	v_lshrrev_b32_e32 v5, 16, v3
	v_fma_f16 v30, v20, v1, v2
	v_mul_f16_sdwa v1, v21, v3 dst_sel:DWORD dst_unused:UNUSED_PAD src0_sel:WORD_1 src1_sel:DWORD
	v_fma_f16 v31, v21, v5, -v1
	v_mul_f16_sdwa v1, v21, v5 dst_sel:DWORD dst_unused:UNUSED_PAD src0_sel:WORD_1 src1_sel:DWORD
	v_fma_f16 v32, v21, v3, v1
	ds_read2_b32 v[1:2], v137 offset0:112 offset1:220
	s_waitcnt lgkmcnt(3)
	v_lshrrev_b32_e32 v3, 16, v14
	v_mul_f16_sdwa v5, v22, v14 dst_sel:DWORD dst_unused:UNUSED_PAD src0_sel:WORD_1 src1_sel:DWORD
	v_fma_f16 v33, v22, v3, -v5
	v_mul_f16_sdwa v3, v22, v3 dst_sel:DWORD dst_unused:UNUSED_PAD src0_sel:WORD_1 src1_sel:DWORD
	v_fma_f16 v34, v22, v14, v3
	s_waitcnt lgkmcnt(0)
	v_lshrrev_b32_e32 v3, 16, v1
	v_mul_f16_sdwa v5, v23, v1 dst_sel:DWORD dst_unused:UNUSED_PAD src0_sel:WORD_1 src1_sel:DWORD
	v_fma_f16 v35, v23, v3, -v5
	v_mul_f16_sdwa v3, v23, v3 dst_sel:DWORD dst_unused:UNUSED_PAD src0_sel:WORD_1 src1_sel:DWORD
	v_fma_f16 v36, v23, v1, v3
	v_lshrrev_b32_e32 v1, 16, v4
	v_mul_f16_sdwa v3, v17, v1 dst_sel:DWORD dst_unused:UNUSED_PAD src0_sel:WORD_1 src1_sel:DWORD
	ds_read2_b32 v[6:7], v111 offset0:136 offset1:244
	v_fma_f16 v3, v17, v4, v3
	v_mul_f16_sdwa v4, v17, v4 dst_sel:DWORD dst_unused:UNUSED_PAD src0_sel:WORD_1 src1_sel:DWORD
	v_fma_f16 v5, v17, v1, -v4
	v_lshrrev_b32_e32 v1, 16, v2
	v_mul_f16_sdwa v4, v19, v1 dst_sel:DWORD dst_unused:UNUSED_PAD src0_sel:WORD_1 src1_sel:DWORD
	v_fma_f16 v11, v19, v2, v4
	v_mul_f16_sdwa v2, v19, v2 dst_sel:DWORD dst_unused:UNUSED_PAD src0_sel:WORD_1 src1_sel:DWORD
	v_fma_f16 v14, v19, v1, -v2
	s_waitcnt lgkmcnt(0)
	v_lshrrev_b32_e32 v1, 16, v6
	v_mul_f16_sdwa v2, v16, v6 dst_sel:DWORD dst_unused:UNUSED_PAD src0_sel:WORD_1 src1_sel:DWORD
	v_fma_f16 v19, v16, v1, -v2
	v_mul_f16_sdwa v1, v16, v1 dst_sel:DWORD dst_unused:UNUSED_PAD src0_sel:WORD_1 src1_sel:DWORD
	v_fma_f16 v23, v16, v6, v1
	v_lshrrev_b32_e32 v1, 16, v8
	v_mul_f16_sdwa v2, v18, v8 dst_sel:DWORD dst_unused:UNUSED_PAD src0_sel:WORD_1 src1_sel:DWORD
	ds_read2_b32 v[15:16], v130 offset0:16 offset1:124
	v_fma_f16 v37, v18, v1, -v2
	v_mul_f16_sdwa v1, v18, v1 dst_sel:DWORD dst_unused:UNUSED_PAD src0_sel:WORD_1 src1_sel:DWORD
	v_lshrrev_b32_e32 v2, 16, v7
	v_mul_f16_sdwa v4, v52, v7 dst_sel:DWORD dst_unused:UNUSED_PAD src0_sel:WORD_1 src1_sel:DWORD
	v_fma_f16 v38, v18, v8, v1
	v_mul_f16_sdwa v1, v52, v2 dst_sel:DWORD dst_unused:UNUSED_PAD src0_sel:WORD_1 src1_sel:DWORD
	v_fma_f16 v2, v52, v2, -v4
	v_lshrrev_b32_e32 v4, 16, v9
	ds_read2_b32 v[21:22], v133 offset0:72 offset1:180
	v_mul_f16_sdwa v6, v54, v4 dst_sel:DWORD dst_unused:UNUSED_PAD src0_sel:WORD_1 src1_sel:DWORD
	v_fma_f16 v1, v52, v7, v1
	v_fma_f16 v7, v54, v9, v6
	v_mul_f16_sdwa v6, v54, v9 dst_sel:DWORD dst_unused:UNUSED_PAD src0_sel:WORD_1 src1_sel:DWORD
	v_fma_f16 v8, v54, v4, -v6
	s_waitcnt lgkmcnt(1)
	v_lshrrev_b32_e32 v4, 16, v15
	v_mul_f16_sdwa v6, v53, v15 dst_sel:DWORD dst_unused:UNUSED_PAD src0_sel:WORD_1 src1_sel:DWORD
	v_fma_f16 v17, v53, v4, -v6
	v_mul_f16_sdwa v4, v53, v4 dst_sel:DWORD dst_unused:UNUSED_PAD src0_sel:WORD_1 src1_sel:DWORD
	v_fma_f16 v20, v53, v15, v4
	s_waitcnt lgkmcnt(0)
	v_lshrrev_b32_e32 v4, 16, v21
	v_mul_f16_sdwa v6, v55, v21 dst_sel:DWORD dst_unused:UNUSED_PAD src0_sel:WORD_1 src1_sel:DWORD
	v_fma_f16 v39, v55, v4, -v6
	v_mul_f16_sdwa v4, v55, v4 dst_sel:DWORD dst_unused:UNUSED_PAD src0_sel:WORD_1 src1_sel:DWORD
	v_fma_f16 v40, v55, v21, v4
	v_lshrrev_b32_e32 v4, 16, v16
	v_mul_f16_sdwa v6, v57, v4 dst_sel:DWORD dst_unused:UNUSED_PAD src0_sel:WORD_1 src1_sel:DWORD
	v_fma_f16 v9, v57, v16, v6
	v_mul_f16_sdwa v6, v57, v16 dst_sel:DWORD dst_unused:UNUSED_PAD src0_sel:WORD_1 src1_sel:DWORD
	ds_read2_b32 v[15:16], v102 offset0:96 offset1:204
	v_fma_f16 v10, v57, v4, -v6
	v_lshrrev_b32_e32 v4, 16, v22
	v_mul_f16_sdwa v6, v59, v4 dst_sel:DWORD dst_unused:UNUSED_PAD src0_sel:WORD_1 src1_sel:DWORD
	v_fma_f16 v18, v59, v22, v6
	v_mul_f16_sdwa v6, v59, v22 dst_sel:DWORD dst_unused:UNUSED_PAD src0_sel:WORD_1 src1_sel:DWORD
	v_fma_f16 v21, v59, v4, -v6
	s_waitcnt lgkmcnt(0)
	v_lshrrev_b32_e32 v4, 16, v15
	v_mul_f16_sdwa v6, v56, v15 dst_sel:DWORD dst_unused:UNUSED_PAD src0_sel:WORD_1 src1_sel:DWORD
	v_fma_f16 v22, v56, v4, -v6
	v_mul_f16_sdwa v4, v56, v4 dst_sel:DWORD dst_unused:UNUSED_PAD src0_sel:WORD_1 src1_sel:DWORD
	v_fma_f16 v24, v56, v15, v4
	v_lshrrev_b32_e32 v4, 16, v25
	v_mul_f16_sdwa v6, v58, v25 dst_sel:DWORD dst_unused:UNUSED_PAD src0_sel:WORD_1 src1_sel:DWORD
	ds_read2_b32 v[27:28], v119 offset0:32 offset1:140
	v_fma_f16 v41, v58, v4, -v6
	v_mul_f16_sdwa v4, v58, v4 dst_sel:DWORD dst_unused:UNUSED_PAD src0_sel:WORD_1 src1_sel:DWORD
	v_lshrrev_b32_e32 v6, 16, v16
	v_mul_f16_sdwa v12, v60, v16 dst_sel:DWORD dst_unused:UNUSED_PAD src0_sel:WORD_1 src1_sel:DWORD
	v_lshrrev_b32_e32 v15, 16, v13
	v_fma_f16 v42, v58, v25, v4
	v_mul_f16_sdwa v4, v60, v6 dst_sel:DWORD dst_unused:UNUSED_PAD src0_sel:WORD_1 src1_sel:DWORD
	v_fma_f16 v6, v60, v6, -v12
	v_mul_f16_sdwa v12, v61, v15 dst_sel:DWORD dst_unused:UNUSED_PAD src0_sel:WORD_1 src1_sel:DWORD
	v_fma_f16 v4, v60, v16, v4
	v_fma_f16 v12, v61, v13, v12
	v_mul_f16_sdwa v13, v61, v13 dst_sel:DWORD dst_unused:UNUSED_PAD src0_sel:WORD_1 src1_sel:DWORD
	v_lshrrev_b32_e32 v16, 16, v26
	v_fma_f16 v15, v61, v15, -v13
	v_mul_f16_sdwa v13, v62, v16 dst_sel:DWORD dst_unused:UNUSED_PAD src0_sel:WORD_1 src1_sel:DWORD
	v_mul_f16_sdwa v25, v62, v26 dst_sel:DWORD dst_unused:UNUSED_PAD src0_sel:WORD_1 src1_sel:DWORD
	v_fma_f16 v13, v62, v26, v13
	v_fma_f16 v16, v62, v16, -v25
	s_waitcnt lgkmcnt(0)
	v_lshrrev_b32_e32 v25, 16, v27
	v_mul_f16_sdwa v26, v63, v27 dst_sel:DWORD dst_unused:UNUSED_PAD src0_sel:WORD_1 src1_sel:DWORD
	v_fma_f16 v43, v63, v25, -v26
	v_mul_f16_sdwa v25, v63, v25 dst_sel:DWORD dst_unused:UNUSED_PAD src0_sel:WORD_1 src1_sel:DWORD
	v_fma_f16 v44, v63, v27, v25
	ds_read2_b32 v[25:26], v112 offset0:120 offset1:228
	v_lshrrev_b32_e32 v27, 16, v28
	v_mul_f16_sdwa v45, v179, v27 dst_sel:DWORD dst_unused:UNUSED_PAD src0_sel:WORD_1 src1_sel:DWORD
	v_fma_f16 v45, v179, v28, v45
	v_mul_f16_sdwa v28, v179, v28 dst_sel:DWORD dst_unused:UNUSED_PAD src0_sel:WORD_1 src1_sel:DWORD
	v_fma_f16 v46, v179, v27, -v28
	s_waitcnt lgkmcnt(0)
	v_lshrrev_b32_e32 v27, 16, v25
	v_mul_f16_sdwa v28, v178, v25 dst_sel:DWORD dst_unused:UNUSED_PAD src0_sel:WORD_1 src1_sel:DWORD
	v_fma_f16 v47, v178, v27, -v28
	v_mul_f16_sdwa v27, v178, v27 dst_sel:DWORD dst_unused:UNUSED_PAD src0_sel:WORD_1 src1_sel:DWORD
	v_fma_f16 v48, v178, v25, v27
	ds_read2_b32 v[27:28], v104 offset0:80 offset1:188
	v_lshrrev_b32_e32 v25, 16, v26
	v_mul_f16_sdwa v49, v88, v25 dst_sel:DWORD dst_unused:UNUSED_PAD src0_sel:WORD_1 src1_sel:DWORD
	v_fma_f16 v49, v88, v26, v49
	v_mul_f16_sdwa v26, v88, v26 dst_sel:DWORD dst_unused:UNUSED_PAD src0_sel:WORD_1 src1_sel:DWORD
	v_fma_f16 v50, v88, v25, -v26
	s_waitcnt lgkmcnt(0)
	v_lshrrev_b32_e32 v25, 16, v27
	v_mul_f16_sdwa v26, v90, v27 dst_sel:DWORD dst_unused:UNUSED_PAD src0_sel:WORD_1 src1_sel:DWORD
	v_fma_f16 v51, v90, v25, -v26
	v_mul_f16_sdwa v25, v90, v25 dst_sel:DWORD dst_unused:UNUSED_PAD src0_sel:WORD_1 src1_sel:DWORD
	v_fma_f16 v27, v90, v27, v25
	ds_read2_b32 v[25:26], v136 offset1:108
	v_lshrrev_b32_e32 v52, 16, v28
	v_mul_f16_sdwa v53, v92, v52 dst_sel:DWORD dst_unused:UNUSED_PAD src0_sel:WORD_1 src1_sel:DWORD
	v_fma_f16 v53, v92, v28, v53
	v_mul_f16_sdwa v28, v92, v28 dst_sel:DWORD dst_unused:UNUSED_PAD src0_sel:WORD_1 src1_sel:DWORD
	v_fma_f16 v28, v92, v52, -v28
	v_add_f16_e32 v52, v32, v36
	s_waitcnt lgkmcnt(0)
	v_fma_f16 v52, v52, -0.5, v25
	v_sub_f16_e32 v54, v31, v35
	v_fma_f16 v55, v54, s1, v52
	v_fma_f16 v52, v54, s0, v52
	v_lshrrev_b32_e32 v54, 16, v25
	v_add_f16_e32 v56, v54, v31
	v_add_f16_e32 v31, v31, v35
	v_fma_f16 v31, v31, -0.5, v54
	v_add_f16_e32 v25, v25, v32
	v_sub_f16_e32 v32, v32, v36
	v_add_f16_e32 v56, v56, v35
	v_fma_f16 v35, v32, s0, v31
	v_fma_f16 v31, v32, s1, v31
	v_add_f16_e32 v32, v34, v45
	v_add_f16_e32 v25, v25, v36
	v_fma_f16 v32, v32, -0.5, v30
	v_sub_f16_e32 v36, v33, v46
	v_fma_f16 v54, v36, s1, v32
	v_fma_f16 v32, v36, s0, v32
	v_add_f16_e32 v36, v29, v33
	v_add_f16_e32 v33, v33, v46
	v_fma_f16 v29, v33, -0.5, v29
	v_sub_f16_e32 v33, v34, v45
	v_add_f16_e32 v30, v30, v34
	v_fma_f16 v34, v33, s0, v29
	v_fma_f16 v29, v33, s1, v29
	v_add_f16_e32 v30, v30, v45
	v_mul_f16_e32 v33, 0xbaee, v34
	v_mul_f16_e32 v34, 0.5, v34
	v_mul_f16_e32 v45, 0xbaee, v29
	v_mul_f16_e32 v29, -0.5, v29
	v_fma_f16 v33, v54, 0.5, v33
	v_fma_f16 v34, v54, s0, v34
	v_fma_f16 v29, v32, s0, v29
	v_add_f16_e32 v36, v36, v46
	v_fma_f16 v45, v32, -0.5, v45
	v_add_f16_e32 v32, v25, v30
	v_sub_f16_e32 v25, v25, v30
	v_add_f16_e32 v30, v55, v33
	v_add_f16_e32 v54, v35, v34
	v_sub_f16_e32 v34, v35, v34
	v_add_f16_e32 v35, v31, v29
	v_sub_f16_e32 v29, v31, v29
	;; [unrolled: 2-line block ×5, first 2 shown]
	v_fma_f16 v31, v31, -0.5, v26
	v_lshrrev_b32_e32 v55, 16, v26
	v_add_f16_e32 v56, v26, v3
	v_pack_b32_f16 v26, v30, v54
	ds_write_b32 v136, v26 offset:2160
	v_pack_b32_f16 v26, v46, v35
	v_pack_b32_f16 v30, v25, v36
	ds_write_b32 v136, v26 offset:4320
	ds_read2_b32 v[25:26], v134 offset0:88 offset1:196
	ds_write_b32 v136, v30 offset:6480
	v_pack_b32_f16 v30, v33, v34
	ds_write_b32 v136, v30 offset:8640
	v_pack_b32_f16 v29, v45, v29
	v_add_f16_e32 v30, v55, v5
	v_add_f16_e32 v33, v23, v38
	;; [unrolled: 1-line block ×3, first 2 shown]
	ds_write_b32 v136, v29 offset:10800
	v_add_f16_e32 v29, v56, v11
	v_add_f16_e32 v30, v30, v14
	;; [unrolled: 1-line block ×6, first 2 shown]
	v_pack_b32_f16 v32, v32, v52
	v_pack_b32_f16 v35, v35, v36
	ds_write2_b32 v136, v32, v35 offset1:108
	v_sub_f16_e32 v32, v5, v14
	v_add_f16_e32 v5, v5, v14
	v_fma_f16 v5, v5, -0.5, v55
	v_sub_f16_e32 v3, v3, v11
	v_fma_f16 v11, v3, s0, v5
	v_fma_f16 v3, v3, s1, v5
	v_add_f16_e32 v5, v38, v48
	v_fma_f16 v5, v5, -0.5, v23
	v_sub_f16_e32 v14, v37, v47
	v_fma_f16 v23, v14, s1, v5
	v_fma_f16 v5, v14, s0, v5
	;; [unrolled: 5-line block ×3, first 2 shown]
	v_fma_f16 v32, v19, s0, v14
	v_fma_f16 v14, v19, s1, v14
	v_mul_f16_e32 v19, 0xbaee, v32
	v_mul_f16_e32 v32, 0.5, v32
	v_fma_f16 v19, v23, 0.5, v19
	v_fma_f16 v23, v23, s0, v32
	v_mul_f16_e32 v32, 0xbaee, v14
	v_mul_f16_e32 v14, -0.5, v14
	v_add_f16_e32 v36, v8, v50
	v_fma_f16 v32, v5, -0.5, v32
	v_fma_f16 v5, v5, s0, v14
	v_add_f16_e32 v14, v35, v19
	v_sub_f16_e32 v19, v35, v19
	v_add_f16_e32 v35, v11, v23
	v_sub_f16_e32 v11, v11, v23
	v_add_f16_e32 v23, v7, v49
	v_fma_f16 v36, v36, -0.5, v2
	v_sub_f16_e32 v45, v7, v49
	v_fma_f16 v23, v23, -0.5, v1
	v_sub_f16_e32 v37, v8, v50
	v_fma_f16 v46, v45, s0, v36
	v_fma_f16 v38, v37, s1, v23
	v_mul_f16_e32 v47, 0xbaee, v46
	v_mul_f16_e32 v46, 0.5, v46
	v_fma_f16 v47, v38, 0.5, v47
	v_fma_f16 v38, v38, s0, v46
	v_pack_b32_f16 v14, v14, v35
	v_add_f16_e32 v35, v31, v32
	v_add_f16_e32 v46, v3, v5
	v_pack_b32_f16 v35, v35, v46
	v_pack_b32_f16 v11, v19, v11
	ds_write_b32 v136, v35 offset:4752
	ds_write_b32 v136, v11 offset:9072
	v_add_f16_e32 v11, v20, v40
	s_waitcnt lgkmcnt(6)
	v_lshrrev_b32_e32 v19, 16, v25
	v_add_f16_e32 v35, v17, v39
	v_fma_f16 v11, v11, -0.5, v25
	v_fma_f16 v35, v35, -0.5, v19
	v_sub_f16_e32 v46, v17, v39
	v_sub_f16_e32 v52, v20, v40
	v_fma_f16 v48, v46, s1, v11
	v_fma_f16 v54, v52, s0, v35
	v_add_f16_e32 v55, v48, v47
	v_add_f16_e32 v56, v54, v38
	v_pack_b32_f16 v55, v55, v56
	v_add_f16_e32 v20, v25, v20
	v_add_f16_e32 v17, v19, v17
	;; [unrolled: 1-line block ×4, first 2 shown]
	ds_write2_b32 v111, v14, v55 offset0:136 offset1:244
	v_sub_f16_e32 v14, v29, v33
	v_sub_f16_e32 v29, v30, v34
	v_add_f16_e32 v20, v20, v40
	v_add_f16_e32 v17, v17, v39
	;; [unrolled: 1-line block ×4, first 2 shown]
	v_pack_b32_f16 v7, v14, v29
	v_sub_f16_e32 v8, v20, v1
	v_sub_f16_e32 v14, v17, v2
	v_pack_b32_f16 v8, v8, v14
	v_fma_f16 v14, v45, s1, v36
	v_sub_f16_e32 v3, v3, v5
	v_fma_f16 v5, v46, s0, v11
	v_fma_f16 v11, v37, s0, v23
	v_add_f16_e32 v2, v17, v2
	v_mul_f16_e32 v17, 0xbaee, v14
	v_mul_f16_e32 v14, -0.5, v14
	ds_write2_b32 v115, v7, v8 offset0:64 offset1:172
	v_fma_f16 v8, v52, s1, v35
	v_fma_f16 v17, v11, -0.5, v17
	v_fma_f16 v11, v11, s0, v14
	v_add_f16_e32 v1, v20, v1
	v_add_f16_e32 v20, v8, v11
	v_sub_f16_e32 v8, v8, v11
	v_add_f16_e32 v11, v9, v18
	v_fma_f16 v11, v11, -0.5, v26
	v_lshrrev_b32_e32 v23, 16, v26
	v_add_f16_e32 v25, v26, v9
	v_sub_f16_e32 v26, v10, v21
	v_fma_f16 v29, v26, s1, v11
	v_fma_f16 v11, v26, s0, v11
	v_add_f16_e32 v26, v23, v10
	v_add_f16_e32 v10, v10, v21
	v_fma_f16 v10, v10, -0.5, v23
	v_sub_f16_e32 v9, v9, v18
	v_add_f16_e32 v26, v26, v21
	v_add_f16_e32 v21, v25, v18
	v_fma_f16 v18, v9, s0, v10
	v_fma_f16 v9, v9, s1, v10
	v_add_f16_e32 v10, v42, v27
	v_fma_f16 v10, v10, -0.5, v24
	v_sub_f16_e32 v23, v41, v51
	v_add_f16_e32 v30, v41, v51
	v_add_f16_e32 v24, v24, v42
	v_fma_f16 v25, v23, s1, v10
	v_fma_f16 v10, v23, s0, v10
	v_add_f16_e32 v23, v22, v41
	v_fma_f16 v22, v30, -0.5, v22
	v_add_f16_e32 v24, v24, v27
	v_sub_f16_e32 v27, v42, v27
	v_fma_f16 v30, v27, s0, v22
	v_fma_f16 v22, v27, s1, v22
	v_mul_f16_e32 v27, 0xbaee, v30
	v_mul_f16_e32 v30, 0.5, v30
	v_fma_f16 v27, v25, 0.5, v27
	v_fma_f16 v25, v25, s0, v30
	v_mul_f16_e32 v30, 0xbaee, v22
	v_mul_f16_e32 v22, -0.5, v22
	v_add_f16_e32 v23, v23, v51
	v_fma_f16 v30, v10, -0.5, v30
	v_fma_f16 v10, v10, s0, v22
	v_add_f16_e32 v22, v21, v24
	v_sub_f16_e32 v21, v21, v24
	v_add_f16_e32 v24, v29, v27
	v_sub_f16_e32 v27, v29, v27
	;; [unrolled: 2-line block ×7, first 2 shown]
	v_fma_f16 v10, v10, -0.5, v0
	v_lshrrev_b32_e32 v31, 16, v0
	v_sub_f16_e32 v32, v15, v43
	v_fma_f16 v33, v32, s1, v10
	v_fma_f16 v10, v32, s0, v10
	v_add_f16_e32 v32, v31, v15
	v_add_f16_e32 v15, v15, v43
	;; [unrolled: 1-line block ×3, first 2 shown]
	v_fma_f16 v15, v15, -0.5, v31
	v_sub_f16_e32 v12, v12, v44
	v_fma_f16 v31, v12, s0, v15
	v_fma_f16 v12, v12, s1, v15
	v_add_f16_e32 v15, v13, v53
	v_add_f16_e32 v19, v5, v17
	v_sub_f16_e32 v5, v5, v17
	v_fma_f16 v15, v15, -0.5, v4
	v_sub_f16_e32 v34, v16, v28
	v_fma_f16 v35, v34, s1, v15
	v_fma_f16 v15, v34, s0, v15
	v_add_f16_e32 v34, v6, v16
	v_add_f16_e32 v16, v16, v28
	v_pack_b32_f16 v3, v7, v3
	v_pack_b32_f16 v5, v5, v8
	v_fma_f16 v6, v16, -0.5, v6
	v_add_f16_e32 v4, v4, v13
	v_sub_f16_e32 v13, v13, v53
	v_pack_b32_f16 v1, v1, v2
	ds_write2_b32 v112, v3, v5 offset0:120 offset1:228
	v_pack_b32_f16 v3, v22, v30
	v_fma_f16 v16, v13, s0, v6
	v_fma_f16 v6, v13, s1, v6
	v_pack_b32_f16 v2, v19, v20
	ds_write2_b32 v134, v1, v3 offset0:88 offset1:196
	v_pack_b32_f16 v3, v29, v25
	v_sub_f16_e32 v14, v48, v47
	v_sub_f16_e32 v17, v54, v38
	v_add_f16_e32 v34, v34, v28
	v_mul_f16_e32 v13, 0xbaee, v16
	v_mul_f16_e32 v28, 0xbaee, v6
	ds_write2_b32 v130, v2, v3 offset0:16 offset1:124
	v_pack_b32_f16 v2, v21, v23
	v_add_f16_e32 v32, v32, v43
	v_add_f16_e32 v0, v0, v44
	;; [unrolled: 1-line block ×3, first 2 shown]
	v_fma_f16 v13, v35, 0.5, v13
	v_mul_f16_e32 v16, 0.5, v16
	v_fma_f16 v28, v15, -0.5, v28
	v_mul_f16_e32 v6, -0.5, v6
	v_pack_b32_f16 v7, v14, v17
	ds_write_b32 v136, v2 offset:7776
	v_pack_b32_f16 v2, v27, v18
	v_fma_f16 v16, v35, s0, v16
	v_fma_f16 v6, v15, s0, v6
	v_add_f16_e32 v15, v0, v4
	v_sub_f16_e32 v0, v0, v4
	v_add_f16_e32 v4, v33, v13
	v_sub_f16_e32 v13, v33, v13
	;; [unrolled: 2-line block ×3, first 2 shown]
	v_add_f16_e32 v28, v32, v34
	ds_write2_b32 v133, v7, v2 offset0:72 offset1:180
	v_pack_b32_f16 v2, v11, v9
	v_sub_f16_e32 v32, v32, v34
	v_add_f16_e32 v34, v31, v16
	ds_write_b32 v136, v2 offset:12096
	v_pack_b32_f16 v2, v15, v28
	v_sub_f16_e32 v16, v31, v16
	v_pack_b32_f16 v1, v24, v26
	ds_write_b32 v136, v2 offset:1728
	v_pack_b32_f16 v2, v4, v34
	v_pack_b32_f16 v0, v0, v32
	v_add_f16_e32 v31, v12, v6
	v_sub_f16_e32 v6, v12, v6
	ds_write2_b32 v102, v1, v2 offset0:96 offset1:204
	ds_write_b32 v136, v0 offset:8208
	v_pack_b32_f16 v0, v13, v16
	v_pack_b32_f16 v1, v33, v31
	ds_write_b32 v136, v0 offset:10368
	v_pack_b32_f16 v0, v10, v6
	ds_write_b32 v136, v1 offset:6048
	ds_write_b32 v136, v0 offset:12528
	s_waitcnt lgkmcnt(0)
	s_barrier
	ds_read2_b32 v[0:1], v136 offset1:108
	s_movk_i32 s6, 0x1ff
	s_movk_i32 s7, 0xffe
	s_waitcnt lgkmcnt(0)
	v_lshrrev_b32_e32 v8, 16, v0
	v_mul_f16_sdwa v2, v135, v8 dst_sel:DWORD dst_unused:UNUSED_PAD src0_sel:WORD_1 src1_sel:DWORD
	v_fma_f16 v2, v135, v0, v2
	v_cvt_f32_f16_e32 v4, v2
	v_mad_u64_u32 v[2:3], s[0:1], s10, v64, 0
	v_mul_f16_sdwa v0, v135, v0 dst_sel:DWORD dst_unused:UNUSED_PAD src0_sel:WORD_1 src1_sel:DWORD
	v_cvt_f64_f32_e32 v[4:5], v4
	v_fma_f16 v0, v135, v8, -v0
	s_movk_i32 s10, 0x40f
	v_mul_f64 v[4:5], v[4:5], s[2:3]
	v_mad_u64_u32 v[6:7], s[0:1], s11, v64, v[3:4]
	v_and_or_b32 v4, v5, s6, v4
	v_cmp_ne_u32_e32 vcc, 0, v4
	v_mov_b32_e32 v3, v6
	v_cndmask_b32_e64 v4, 0, 1, vcc
	v_lshrrev_b32_e32 v6, 8, v5
	v_bfe_u32 v7, v5, 20, 11
	v_and_or_b32 v4, v6, s7, v4
	v_sub_u32_e32 v9, 0x3f1, v7
	v_or_b32_e32 v6, 0x1000, v4
	v_med3_i32 v9, v9, 0, 13
	v_lshrrev_b32_e32 v10, v9, v6
	v_lshlrev_b32_e32 v9, v9, v10
	v_cmp_ne_u32_e32 vcc, v9, v6
	v_cndmask_b32_e64 v6, 0, 1, vcc
	v_add_u32_e32 v9, 0xfffffc10, v7
	v_or_b32_e32 v6, v10, v6
	v_lshl_or_b32 v7, v9, 12, v4
	v_cmp_gt_i32_e32 vcc, 1, v9
	v_cndmask_b32_e32 v6, v7, v6, vcc
	v_and_b32_e32 v7, 7, v6
	v_cmp_lt_i32_e32 vcc, 5, v7
	v_cmp_eq_u32_e64 s[0:1], 3, v7
	v_cvt_f32_f16_e32 v7, v0
	v_lshrrev_b32_e32 v6, 2, v6
	s_or_b64 vcc, s[0:1], vcc
	v_addc_co_u32_e32 v8, vcc, 0, v6, vcc
	v_cvt_f64_f32_e32 v[6:7], v7
	v_mov_b32_e32 v0, 0x7c00
	v_cmp_gt_i32_e32 vcc, 31, v9
	v_cndmask_b32_e32 v8, v0, v8, vcc
	v_mul_f64 v[6:7], v[6:7], s[2:3]
	v_cmp_ne_u32_e32 vcc, 0, v4
	v_cndmask_b32_e64 v4, 0, 1, vcc
	v_lshl_or_b32 v4, v4, 9, v0
	v_cmp_eq_u32_e32 vcc, s10, v9
	v_cndmask_b32_e32 v4, v8, v4, vcc
	v_lshrrev_b32_e32 v5, 16, v5
	s_mov_b32 s11, 0x8000
	v_and_or_b32 v10, v5, s11, v4
	v_and_or_b32 v4, v7, s6, v6
	v_cmp_ne_u32_e32 vcc, 0, v4
	v_cndmask_b32_e64 v4, 0, 1, vcc
	v_lshrrev_b32_e32 v5, 8, v7
	v_bfe_u32 v6, v7, 20, 11
	v_and_or_b32 v4, v5, s7, v4
	v_sub_u32_e32 v8, 0x3f1, v6
	v_or_b32_e32 v5, 0x1000, v4
	v_med3_i32 v8, v8, 0, 13
	v_lshrrev_b32_e32 v9, v8, v5
	v_lshlrev_b32_e32 v8, v8, v9
	v_cmp_ne_u32_e32 vcc, v8, v5
	v_cndmask_b32_e64 v5, 0, 1, vcc
	v_add_u32_e32 v6, 0xfffffc10, v6
	v_or_b32_e32 v5, v9, v5
	v_lshl_or_b32 v8, v6, 12, v4
	v_cmp_gt_i32_e32 vcc, 1, v6
	v_cndmask_b32_e32 v5, v8, v5, vcc
	v_and_b32_e32 v8, 7, v5
	v_cmp_lt_i32_e32 vcc, 5, v8
	v_cmp_eq_u32_e64 s[0:1], 3, v8
	v_lshrrev_b32_e32 v5, 2, v5
	s_or_b64 vcc, s[0:1], vcc
	v_addc_co_u32_e32 v5, vcc, 0, v5, vcc
	v_cmp_gt_i32_e32 vcc, 31, v6
	v_cndmask_b32_e32 v8, v0, v5, vcc
	v_cmp_ne_u32_e32 vcc, 0, v4
	v_cndmask_b32_e64 v4, 0, 1, vcc
	v_lshl_or_b32 v9, v4, 9, v0
	v_cmp_eq_u32_e32 vcc, s10, v6
	v_cndmask_b32_e32 v11, v8, v9, vcc
	ds_read2_b32 v[8:9], v138 offset0:56 offset1:164
	v_mad_u64_u32 v[4:5], s[0:1], s8, v132, 0
	v_lshrrev_b32_e32 v7, 16, v7
	v_and_or_b32 v11, v7, s11, v11
	v_mad_u64_u32 v[5:6], s[0:1], s9, v132, v[5:6]
	s_waitcnt lgkmcnt(0)
	v_lshrrev_b32_e32 v12, 16, v8
	v_mul_f16_sdwa v6, v131, v12 dst_sel:DWORD dst_unused:UNUSED_PAD src0_sel:WORD_1 src1_sel:DWORD
	v_fma_f16 v6, v131, v8, v6
	v_cvt_f32_f16_e32 v6, v6
	v_lshlrev_b64 v[2:3], 2, v[2:3]
	v_and_b32_e32 v10, 0xffff, v10
	v_lshl_or_b32 v10, v11, 16, v10
	v_cvt_f64_f32_e32 v[6:7], v6
	v_mov_b32_e32 v11, s5
	v_add_co_u32_e32 v13, vcc, s4, v2
	v_mul_f64 v[6:7], v[6:7], s[2:3]
	v_addc_co_u32_e32 v11, vcc, v11, v3, vcc
	v_lshlrev_b64 v[2:3], 2, v[4:5]
	v_mul_f16_sdwa v8, v131, v8 dst_sel:DWORD dst_unused:UNUSED_PAD src0_sel:WORD_1 src1_sel:DWORD
	v_add_co_u32_e32 v2, vcc, v13, v2
	v_addc_co_u32_e32 v3, vcc, v11, v3, vcc
	v_and_or_b32 v4, v7, s6, v6
	v_cmp_ne_u32_e32 vcc, 0, v4
	v_cndmask_b32_e64 v4, 0, 1, vcc
	v_lshrrev_b32_e32 v5, 8, v7
	v_and_or_b32 v6, v5, s7, v4
	v_bfe_u32 v5, v7, 20, 11
	global_store_dword v[2:3], v10, off
	v_sub_u32_e32 v10, 0x3f1, v5
	v_or_b32_e32 v4, 0x1000, v6
	v_med3_i32 v10, v10, 0, 13
	v_lshrrev_b32_e32 v11, v10, v4
	v_lshlrev_b32_e32 v10, v10, v11
	v_cmp_ne_u32_e32 vcc, v10, v4
	v_fma_f16 v8, v131, v12, -v8
	v_cndmask_b32_e64 v4, 0, 1, vcc
	v_add_u32_e32 v10, 0xfffffc10, v5
	v_cvt_f32_f16_e32 v8, v8
	v_or_b32_e32 v4, v11, v4
	v_lshl_or_b32 v5, v10, 12, v6
	v_cmp_gt_i32_e32 vcc, 1, v10
	v_cndmask_b32_e32 v4, v5, v4, vcc
	v_and_b32_e32 v5, 7, v4
	v_cmp_lt_i32_e32 vcc, 5, v5
	v_cmp_eq_u32_e64 s[0:1], 3, v5
	v_lshrrev_b32_e32 v11, 2, v4
	v_cvt_f64_f32_e32 v[4:5], v8
	s_or_b64 vcc, s[0:1], vcc
	v_addc_co_u32_e32 v8, vcc, 0, v11, vcc
	v_mul_f64 v[4:5], v[4:5], s[2:3]
	v_cmp_gt_i32_e32 vcc, 31, v10
	v_cndmask_b32_e32 v8, v0, v8, vcc
	v_cmp_ne_u32_e32 vcc, 0, v6
	v_cndmask_b32_e64 v6, 0, 1, vcc
	v_lshl_or_b32 v6, v6, 9, v0
	v_cmp_eq_u32_e32 vcc, s10, v10
	v_cndmask_b32_e32 v6, v8, v6, vcc
	v_and_or_b32 v4, v5, s6, v4
	v_lshrrev_b32_e32 v7, 16, v7
	v_cmp_ne_u32_e32 vcc, 0, v4
	v_and_or_b32 v8, v7, s11, v6
	v_cndmask_b32_e64 v4, 0, 1, vcc
	v_lshrrev_b32_e32 v6, 8, v5
	v_bfe_u32 v7, v5, 20, 11
	v_and_or_b32 v4, v6, s7, v4
	v_sub_u32_e32 v10, 0x3f1, v7
	v_or_b32_e32 v6, 0x1000, v4
	v_med3_i32 v10, v10, 0, 13
	v_lshrrev_b32_e32 v11, v10, v6
	v_lshlrev_b32_e32 v10, v10, v11
	v_cmp_ne_u32_e32 vcc, v10, v6
	v_cndmask_b32_e64 v6, 0, 1, vcc
	v_add_u32_e32 v10, 0xfffffc10, v7
	v_or_b32_e32 v6, v11, v6
	v_lshl_or_b32 v7, v10, 12, v4
	v_cmp_gt_i32_e32 vcc, 1, v10
	v_cndmask_b32_e32 v6, v7, v6, vcc
	v_and_b32_e32 v7, 7, v6
	v_cmp_lt_i32_e32 vcc, 5, v7
	v_cmp_eq_u32_e64 s[0:1], 3, v7
	v_lshrrev_b32_e32 v6, 2, v6
	s_or_b64 vcc, s[0:1], vcc
	v_addc_co_u32_e32 v6, vcc, 0, v6, vcc
	v_cmp_gt_i32_e32 vcc, 31, v10
	v_cndmask_b32_e32 v11, v0, v6, vcc
	ds_read2_b32 v[6:7], v137 offset0:112 offset1:220
	v_cmp_ne_u32_e32 vcc, 0, v4
	v_cndmask_b32_e64 v4, 0, 1, vcc
	v_lshl_or_b32 v4, v4, 9, v0
	v_cmp_eq_u32_e32 vcc, s10, v10
	s_waitcnt lgkmcnt(0)
	v_lshrrev_b32_e32 v10, 16, v6
	v_cndmask_b32_e32 v4, v11, v4, vcc
	v_mul_f16_sdwa v11, v129, v10 dst_sel:DWORD dst_unused:UNUSED_PAD src0_sel:WORD_1 src1_sel:DWORD
	v_fma_f16 v11, v129, v6, v11
	v_cvt_f32_f16_e32 v11, v11
	v_lshrrev_b32_e32 v5, 16, v5
	v_and_or_b32 v4, v5, s11, v4
	v_and_b32_e32 v5, 0xffff, v8
	v_lshl_or_b32 v8, v4, 16, v5
	v_cvt_f64_f32_e32 v[4:5], v11
	s_mul_i32 s0, s9, 0x10e0
	s_mul_hi_u32 s4, s8, 0x10e0
	s_add_i32 s4, s4, s0
	v_mul_f64 v[4:5], v[4:5], s[2:3]
	s_mul_i32 s5, s8, 0x10e0
	v_mov_b32_e32 v11, s4
	v_add_co_u32_e32 v2, vcc, s5, v2
	v_addc_co_u32_e32 v3, vcc, v3, v11, vcc
	global_store_dword v[2:3], v8, off
	v_and_or_b32 v4, v5, s6, v4
	v_cmp_ne_u32_e32 vcc, 0, v4
	v_cndmask_b32_e64 v4, 0, 1, vcc
	v_lshrrev_b32_e32 v8, 8, v5
	v_bfe_u32 v11, v5, 20, 11
	v_and_or_b32 v4, v8, s7, v4
	v_sub_u32_e32 v12, 0x3f1, v11
	v_or_b32_e32 v8, 0x1000, v4
	v_med3_i32 v12, v12, 0, 13
	v_lshrrev_b32_e32 v13, v12, v8
	v_lshlrev_b32_e32 v12, v12, v13
	v_mul_f16_sdwa v6, v129, v6 dst_sel:DWORD dst_unused:UNUSED_PAD src0_sel:WORD_1 src1_sel:DWORD
	v_cmp_ne_u32_e32 vcc, v12, v8
	v_fma_f16 v6, v129, v10, -v6
	v_cndmask_b32_e64 v8, 0, 1, vcc
	v_add_u32_e32 v12, 0xfffffc10, v11
	v_cvt_f32_f16_e32 v6, v6
	v_or_b32_e32 v8, v13, v8
	v_lshl_or_b32 v11, v12, 12, v4
	v_cmp_gt_i32_e32 vcc, 1, v12
	v_cndmask_b32_e32 v8, v11, v8, vcc
	v_and_b32_e32 v11, 7, v8
	v_cmp_lt_i32_e32 vcc, 5, v11
	v_cmp_eq_u32_e64 s[0:1], 3, v11
	v_cvt_f64_f32_e32 v[10:11], v6
	v_lshrrev_b32_e32 v8, 2, v8
	s_or_b64 vcc, s[0:1], vcc
	v_addc_co_u32_e32 v6, vcc, 0, v8, vcc
	v_mul_f64 v[10:11], v[10:11], s[2:3]
	v_cmp_gt_i32_e32 vcc, 31, v12
	v_cndmask_b32_e32 v6, v0, v6, vcc
	v_cmp_ne_u32_e32 vcc, 0, v4
	v_cndmask_b32_e64 v4, 0, 1, vcc
	v_lshl_or_b32 v4, v4, 9, v0
	v_cmp_eq_u32_e32 vcc, s10, v12
	v_cndmask_b32_e32 v4, v6, v4, vcc
	v_lshrrev_b32_e32 v5, 16, v5
	v_and_or_b32 v6, v5, s11, v4
	v_and_or_b32 v4, v11, s6, v10
	v_cmp_ne_u32_e32 vcc, 0, v4
	v_cndmask_b32_e64 v4, 0, 1, vcc
	v_lshrrev_b32_e32 v5, 8, v11
	v_bfe_u32 v8, v11, 20, 11
	v_and_or_b32 v4, v5, s7, v4
	v_sub_u32_e32 v10, 0x3f1, v8
	v_or_b32_e32 v5, 0x1000, v4
	v_med3_i32 v10, v10, 0, 13
	v_lshrrev_b32_e32 v12, v10, v5
	v_lshlrev_b32_e32 v10, v10, v12
	v_cmp_ne_u32_e32 vcc, v10, v5
	v_cndmask_b32_e64 v5, 0, 1, vcc
	v_add_u32_e32 v8, 0xfffffc10, v8
	v_or_b32_e32 v5, v12, v5
	v_lshl_or_b32 v10, v8, 12, v4
	v_cmp_gt_i32_e32 vcc, 1, v8
	v_cndmask_b32_e32 v5, v10, v5, vcc
	v_and_b32_e32 v10, 7, v5
	v_cmp_lt_i32_e32 vcc, 5, v10
	v_cmp_eq_u32_e64 s[0:1], 3, v10
	v_lshrrev_b32_e32 v10, 16, v1
	v_lshrrev_b32_e32 v5, 2, v5
	s_or_b64 vcc, s[0:1], vcc
	v_mul_f16_sdwa v12, v128, v10 dst_sel:DWORD dst_unused:UNUSED_PAD src0_sel:WORD_1 src1_sel:DWORD
	v_addc_co_u32_e32 v5, vcc, 0, v5, vcc
	v_fma_f16 v12, v128, v1, v12
	v_cmp_gt_i32_e32 vcc, 31, v8
	v_cvt_f32_f16_e32 v12, v12
	v_cndmask_b32_e32 v5, v0, v5, vcc
	v_cmp_ne_u32_e32 vcc, 0, v4
	v_cndmask_b32_e64 v4, 0, 1, vcc
	v_lshl_or_b32 v4, v4, 9, v0
	v_cmp_eq_u32_e32 vcc, s10, v8
	v_cndmask_b32_e32 v8, v5, v4, vcc
	v_cvt_f64_f32_e32 v[4:5], v12
	v_lshrrev_b32_e32 v11, 16, v11
	v_and_or_b32 v8, v11, s11, v8
	v_and_b32_e32 v6, 0xffff, v6
	v_mul_f64 v[4:5], v[4:5], s[2:3]
	v_lshl_or_b32 v6, v8, 16, v6
	v_mov_b32_e32 v8, s4
	v_add_co_u32_e32 v2, vcc, s5, v2
	v_addc_co_u32_e32 v3, vcc, v3, v8, vcc
	global_store_dword v[2:3], v6, off
	v_and_or_b32 v4, v5, s6, v4
	v_cmp_ne_u32_e32 vcc, 0, v4
	v_cndmask_b32_e64 v4, 0, 1, vcc
	v_lshrrev_b32_e32 v6, 8, v5
	v_bfe_u32 v8, v5, 20, 11
	v_and_or_b32 v4, v6, s7, v4
	v_sub_u32_e32 v11, 0x3f1, v8
	v_or_b32_e32 v6, 0x1000, v4
	v_med3_i32 v11, v11, 0, 13
	v_lshrrev_b32_e32 v12, v11, v6
	v_lshlrev_b32_e32 v11, v11, v12
	v_mul_f16_sdwa v1, v128, v1 dst_sel:DWORD dst_unused:UNUSED_PAD src0_sel:WORD_1 src1_sel:DWORD
	v_cmp_ne_u32_e32 vcc, v11, v6
	v_fma_f16 v1, v128, v10, -v1
	v_cndmask_b32_e64 v6, 0, 1, vcc
	v_add_u32_e32 v8, 0xfffffc10, v8
	v_cvt_f32_f16_e32 v1, v1
	v_or_b32_e32 v6, v12, v6
	v_lshl_or_b32 v11, v8, 12, v4
	v_cmp_gt_i32_e32 vcc, 1, v8
	v_cndmask_b32_e32 v6, v11, v6, vcc
	v_and_b32_e32 v11, 7, v6
	v_cmp_lt_i32_e32 vcc, 5, v11
	v_cmp_eq_u32_e64 s[0:1], 3, v11
	v_cvt_f64_f32_e32 v[10:11], v1
	v_lshrrev_b32_e32 v6, 2, v6
	s_or_b64 vcc, s[0:1], vcc
	v_addc_co_u32_e32 v1, vcc, 0, v6, vcc
	v_mul_f64 v[10:11], v[10:11], s[2:3]
	v_cmp_gt_i32_e32 vcc, 31, v8
	v_cndmask_b32_e32 v1, v0, v1, vcc
	v_cmp_ne_u32_e32 vcc, 0, v4
	v_cndmask_b32_e64 v4, 0, 1, vcc
	v_lshl_or_b32 v4, v4, 9, v0
	v_cmp_eq_u32_e32 vcc, s10, v8
	v_cndmask_b32_e32 v1, v1, v4, vcc
	v_lshrrev_b32_e32 v4, 16, v5
	v_and_or_b32 v1, v4, s11, v1
	v_and_or_b32 v4, v11, s6, v10
	v_cmp_ne_u32_e32 vcc, 0, v4
	v_cndmask_b32_e64 v4, 0, 1, vcc
	v_lshrrev_b32_e32 v5, 8, v11
	v_bfe_u32 v6, v11, 20, 11
	v_and_or_b32 v4, v5, s7, v4
	v_sub_u32_e32 v8, 0x3f1, v6
	v_or_b32_e32 v5, 0x1000, v4
	v_med3_i32 v8, v8, 0, 13
	v_lshrrev_b32_e32 v10, v8, v5
	v_lshlrev_b32_e32 v8, v8, v10
	v_cmp_ne_u32_e32 vcc, v8, v5
	v_cndmask_b32_e64 v5, 0, 1, vcc
	v_add_u32_e32 v6, 0xfffffc10, v6
	v_or_b32_e32 v5, v10, v5
	v_lshl_or_b32 v8, v6, 12, v4
	v_cmp_gt_i32_e32 vcc, 1, v6
	v_cndmask_b32_e32 v5, v8, v5, vcc
	v_and_b32_e32 v8, 7, v5
	v_cmp_lt_i32_e32 vcc, 5, v8
	v_cmp_eq_u32_e64 s[0:1], 3, v8
	v_lshrrev_b32_e32 v5, 2, v5
	s_or_b64 vcc, s[0:1], vcc
	v_addc_co_u32_e32 v5, vcc, 0, v5, vcc
	v_cmp_gt_i32_e32 vcc, 31, v6
	v_cndmask_b32_e32 v5, v0, v5, vcc
	v_cmp_ne_u32_e32 vcc, 0, v4
	v_cndmask_b32_e64 v4, 0, 1, vcc
	v_lshl_or_b32 v4, v4, 9, v0
	v_cmp_eq_u32_e32 vcc, s10, v6
	v_cndmask_b32_e32 v4, v5, v4, vcc
	v_lshrrev_b32_e32 v5, 16, v11
	v_lshrrev_b32_e32 v6, 16, v9
	v_and_or_b32 v4, v5, s11, v4
	v_mul_f16_sdwa v5, v127, v6 dst_sel:DWORD dst_unused:UNUSED_PAD src0_sel:WORD_1 src1_sel:DWORD
	v_fma_f16 v5, v127, v9, v5
	v_cvt_f32_f16_e32 v5, v5
	v_and_b32_e32 v1, 0xffff, v1
	v_lshl_or_b32 v8, v4, 16, v1
	s_mul_hi_u32 s1, s8, 0xffffdff0
	v_cvt_f64_f32_e32 v[4:5], v5
	s_mul_i32 s0, s9, 0xffffdff0
	s_sub_i32 s9, s1, s8
	s_add_i32 s9, s9, s0
	v_mul_f64 v[4:5], v[4:5], s[2:3]
	s_mulk_i32 s8, 0xdff0
	v_mov_b32_e32 v10, s9
	v_add_co_u32_e32 v1, vcc, s8, v2
	v_addc_co_u32_e32 v2, vcc, v3, v10, vcc
	global_store_dword v[1:2], v8, off
	v_and_or_b32 v3, v5, s6, v4
	v_cmp_ne_u32_e32 vcc, 0, v3
	v_cndmask_b32_e64 v3, 0, 1, vcc
	v_lshrrev_b32_e32 v4, 8, v5
	v_and_or_b32 v8, v4, s7, v3
	v_bfe_u32 v4, v5, 20, 11
	v_sub_u32_e32 v10, 0x3f1, v4
	v_or_b32_e32 v3, 0x1000, v8
	v_med3_i32 v10, v10, 0, 13
	v_lshrrev_b32_e32 v11, v10, v3
	v_lshlrev_b32_e32 v10, v10, v11
	v_mul_f16_sdwa v9, v127, v9 dst_sel:DWORD dst_unused:UNUSED_PAD src0_sel:WORD_1 src1_sel:DWORD
	v_cmp_ne_u32_e32 vcc, v10, v3
	v_fma_f16 v6, v127, v6, -v9
	v_cndmask_b32_e64 v3, 0, 1, vcc
	v_add_u32_e32 v10, 0xfffffc10, v4
	v_cvt_f32_f16_e32 v6, v6
	v_or_b32_e32 v3, v11, v3
	v_lshl_or_b32 v4, v10, 12, v8
	v_cmp_gt_i32_e32 vcc, 1, v10
	v_cndmask_b32_e32 v3, v4, v3, vcc
	v_and_b32_e32 v4, 7, v3
	v_cmp_lt_i32_e32 vcc, 5, v4
	v_cmp_eq_u32_e64 s[0:1], 3, v4
	v_lshrrev_b32_e32 v9, 2, v3
	v_cvt_f64_f32_e32 v[3:4], v6
	s_or_b64 vcc, s[0:1], vcc
	v_addc_co_u32_e32 v6, vcc, 0, v9, vcc
	v_mul_f64 v[3:4], v[3:4], s[2:3]
	v_cmp_gt_i32_e32 vcc, 31, v10
	v_cndmask_b32_e32 v6, v0, v6, vcc
	v_cmp_ne_u32_e32 vcc, 0, v8
	v_cndmask_b32_e64 v8, 0, 1, vcc
	v_lshl_or_b32 v8, v8, 9, v0
	v_cmp_eq_u32_e32 vcc, s10, v10
	v_cndmask_b32_e32 v6, v6, v8, vcc
	v_and_or_b32 v3, v4, s6, v3
	v_lshrrev_b32_e32 v5, 16, v5
	v_cmp_ne_u32_e32 vcc, 0, v3
	v_and_or_b32 v8, v5, s11, v6
	v_cndmask_b32_e64 v3, 0, 1, vcc
	v_lshrrev_b32_e32 v5, 8, v4
	v_bfe_u32 v6, v4, 20, 11
	v_and_or_b32 v3, v5, s7, v3
	v_sub_u32_e32 v9, 0x3f1, v6
	v_or_b32_e32 v5, 0x1000, v3
	v_med3_i32 v9, v9, 0, 13
	v_lshrrev_b32_e32 v10, v9, v5
	v_lshlrev_b32_e32 v9, v9, v10
	v_cmp_ne_u32_e32 vcc, v9, v5
	v_cndmask_b32_e64 v5, 0, 1, vcc
	v_add_u32_e32 v6, 0xfffffc10, v6
	v_or_b32_e32 v5, v10, v5
	v_lshl_or_b32 v9, v6, 12, v3
	v_cmp_gt_i32_e32 vcc, 1, v6
	v_cndmask_b32_e32 v5, v9, v5, vcc
	v_and_b32_e32 v9, 7, v5
	v_cmp_lt_i32_e32 vcc, 5, v9
	v_cmp_eq_u32_e64 s[0:1], 3, v9
	v_lshrrev_b32_e32 v9, 16, v7
	v_lshrrev_b32_e32 v5, 2, v5
	s_or_b64 vcc, s[0:1], vcc
	v_mul_f16_sdwa v10, v125, v9 dst_sel:DWORD dst_unused:UNUSED_PAD src0_sel:WORD_1 src1_sel:DWORD
	v_addc_co_u32_e32 v5, vcc, 0, v5, vcc
	v_fma_f16 v10, v125, v7, v10
	v_cmp_gt_i32_e32 vcc, 31, v6
	v_cvt_f32_f16_e32 v10, v10
	v_cndmask_b32_e32 v5, v0, v5, vcc
	v_cmp_ne_u32_e32 vcc, 0, v3
	v_cndmask_b32_e64 v3, 0, 1, vcc
	v_lshl_or_b32 v3, v3, 9, v0
	v_cmp_eq_u32_e32 vcc, s10, v6
	v_cndmask_b32_e32 v3, v5, v3, vcc
	v_cvt_f64_f32_e32 v[5:6], v10
	v_lshrrev_b32_e32 v4, 16, v4
	v_and_or_b32 v10, v4, s11, v3
	v_add_co_u32_e32 v1, vcc, s5, v1
	v_mul_f64 v[3:4], v[5:6], s[2:3]
	v_mov_b32_e32 v6, s4
	v_and_b32_e32 v8, 0xffff, v8
	v_addc_co_u32_e32 v2, vcc, v2, v6, vcc
	v_lshl_or_b32 v5, v10, 16, v8
	global_store_dword v[1:2], v5, off
	v_mul_f16_sdwa v7, v125, v7 dst_sel:DWORD dst_unused:UNUSED_PAD src0_sel:WORD_1 src1_sel:DWORD
	v_and_or_b32 v3, v4, s6, v3
	v_cmp_ne_u32_e32 vcc, 0, v3
	v_cndmask_b32_e64 v3, 0, 1, vcc
	v_lshrrev_b32_e32 v5, 8, v4
	v_bfe_u32 v6, v4, 20, 11
	v_and_or_b32 v3, v5, s7, v3
	v_sub_u32_e32 v8, 0x3f1, v6
	v_or_b32_e32 v5, 0x1000, v3
	v_med3_i32 v8, v8, 0, 13
	v_lshrrev_b32_e32 v10, v8, v5
	v_lshlrev_b32_e32 v8, v8, v10
	v_cmp_ne_u32_e32 vcc, v8, v5
	v_fma_f16 v7, v125, v9, -v7
	v_cndmask_b32_e64 v5, 0, 1, vcc
	v_add_u32_e32 v8, 0xfffffc10, v6
	v_cvt_f32_f16_e32 v7, v7
	v_or_b32_e32 v5, v10, v5
	v_lshl_or_b32 v6, v8, 12, v3
	v_cmp_gt_i32_e32 vcc, 1, v8
	v_cndmask_b32_e32 v5, v6, v5, vcc
	v_and_b32_e32 v6, 7, v5
	v_cmp_lt_i32_e32 vcc, 5, v6
	v_cmp_eq_u32_e64 s[0:1], 3, v6
	v_lshrrev_b32_e32 v9, 2, v5
	v_cvt_f64_f32_e32 v[5:6], v7
	s_or_b64 vcc, s[0:1], vcc
	v_addc_co_u32_e32 v7, vcc, 0, v9, vcc
	v_mul_f64 v[5:6], v[5:6], s[2:3]
	v_cmp_gt_i32_e32 vcc, 31, v8
	v_cndmask_b32_e32 v7, v0, v7, vcc
	v_cmp_ne_u32_e32 vcc, 0, v3
	v_cndmask_b32_e64 v3, 0, 1, vcc
	v_lshl_or_b32 v3, v3, 9, v0
	v_cmp_eq_u32_e32 vcc, s10, v8
	v_cndmask_b32_e32 v3, v7, v3, vcc
	v_lshrrev_b32_e32 v4, 16, v4
	v_and_or_b32 v9, v4, s11, v3
	v_and_or_b32 v3, v6, s6, v5
	v_cmp_ne_u32_e32 vcc, 0, v3
	v_cndmask_b32_e64 v3, 0, 1, vcc
	v_lshrrev_b32_e32 v4, 8, v6
	v_and_or_b32 v5, v4, s7, v3
	v_bfe_u32 v4, v6, 20, 11
	v_sub_u32_e32 v7, 0x3f1, v4
	v_or_b32_e32 v3, 0x1000, v5
	v_med3_i32 v7, v7, 0, 13
	v_lshrrev_b32_e32 v8, v7, v3
	v_lshlrev_b32_e32 v7, v7, v8
	v_cmp_ne_u32_e32 vcc, v7, v3
	v_cndmask_b32_e64 v3, 0, 1, vcc
	v_add_u32_e32 v7, 0xfffffc10, v4
	v_or_b32_e32 v3, v8, v3
	v_lshl_or_b32 v4, v7, 12, v5
	v_cmp_gt_i32_e32 vcc, 1, v7
	v_cndmask_b32_e32 v3, v4, v3, vcc
	v_and_b32_e32 v4, 7, v3
	v_cmp_lt_i32_e32 vcc, 5, v4
	v_cmp_eq_u32_e64 s[0:1], 3, v4
	v_lshrrev_b32_e32 v3, 2, v3
	s_or_b64 vcc, s[0:1], vcc
	v_addc_co_u32_e32 v8, vcc, 0, v3, vcc
	ds_read2_b32 v[3:4], v134 offset0:88 offset1:196
	v_cmp_gt_i32_e32 vcc, 31, v7
	v_cndmask_b32_e32 v8, v0, v8, vcc
	v_cmp_ne_u32_e32 vcc, 0, v5
	v_cndmask_b32_e64 v5, 0, 1, vcc
	s_waitcnt lgkmcnt(0)
	v_lshrrev_b32_e32 v10, 16, v3
	v_mul_f16_sdwa v11, v122, v10 dst_sel:DWORD dst_unused:UNUSED_PAD src0_sel:WORD_1 src1_sel:DWORD
	v_fma_f16 v11, v122, v3, v11
	v_cvt_f32_f16_e32 v11, v11
	v_lshl_or_b32 v5, v5, 9, v0
	v_cmp_eq_u32_e32 vcc, s10, v7
	v_cndmask_b32_e32 v5, v8, v5, vcc
	v_cvt_f64_f32_e32 v[7:8], v11
	v_lshrrev_b32_e32 v6, 16, v6
	v_and_or_b32 v11, v6, s11, v5
	v_add_co_u32_e32 v1, vcc, s5, v1
	v_mul_f64 v[5:6], v[7:8], s[2:3]
	v_mov_b32_e32 v8, s4
	v_and_b32_e32 v9, 0xffff, v9
	v_addc_co_u32_e32 v2, vcc, v2, v8, vcc
	v_lshl_or_b32 v7, v11, 16, v9
	global_store_dword v[1:2], v7, off
	v_mul_f16_sdwa v3, v122, v3 dst_sel:DWORD dst_unused:UNUSED_PAD src0_sel:WORD_1 src1_sel:DWORD
	v_and_or_b32 v5, v6, s6, v5
	v_cmp_ne_u32_e32 vcc, 0, v5
	v_cndmask_b32_e64 v5, 0, 1, vcc
	v_lshrrev_b32_e32 v7, 8, v6
	v_bfe_u32 v8, v6, 20, 11
	v_and_or_b32 v5, v7, s7, v5
	v_sub_u32_e32 v9, 0x3f1, v8
	v_or_b32_e32 v7, 0x1000, v5
	v_med3_i32 v9, v9, 0, 13
	v_lshrrev_b32_e32 v11, v9, v7
	v_lshlrev_b32_e32 v9, v9, v11
	v_cmp_ne_u32_e32 vcc, v9, v7
	v_fma_f16 v3, v122, v10, -v3
	v_cndmask_b32_e64 v7, 0, 1, vcc
	v_add_u32_e32 v9, 0xfffffc10, v8
	v_cvt_f32_f16_e32 v3, v3
	v_or_b32_e32 v7, v11, v7
	v_lshl_or_b32 v8, v9, 12, v5
	v_cmp_gt_i32_e32 vcc, 1, v9
	v_cndmask_b32_e32 v7, v8, v7, vcc
	v_and_b32_e32 v8, 7, v7
	v_cmp_lt_i32_e32 vcc, 5, v8
	v_cmp_eq_u32_e64 s[0:1], 3, v8
	v_lshrrev_b32_e32 v10, 2, v7
	v_cvt_f64_f32_e32 v[7:8], v3
	s_or_b64 vcc, s[0:1], vcc
	v_addc_co_u32_e32 v3, vcc, 0, v10, vcc
	v_mul_f64 v[7:8], v[7:8], s[2:3]
	v_cmp_gt_i32_e32 vcc, 31, v9
	v_cndmask_b32_e32 v3, v0, v3, vcc
	v_cmp_ne_u32_e32 vcc, 0, v5
	v_cndmask_b32_e64 v5, 0, 1, vcc
	v_lshl_or_b32 v5, v5, 9, v0
	v_cmp_eq_u32_e32 vcc, s10, v9
	v_cndmask_b32_e32 v3, v3, v5, vcc
	v_lshrrev_b32_e32 v5, 16, v6
	v_and_or_b32 v3, v5, s11, v3
	v_and_or_b32 v5, v8, s6, v7
	v_cmp_ne_u32_e32 vcc, 0, v5
	v_cndmask_b32_e64 v5, 0, 1, vcc
	v_lshrrev_b32_e32 v6, 8, v8
	v_and_or_b32 v7, v6, s7, v5
	v_bfe_u32 v6, v8, 20, 11
	v_sub_u32_e32 v9, 0x3f1, v6
	v_or_b32_e32 v5, 0x1000, v7
	v_med3_i32 v9, v9, 0, 13
	v_lshrrev_b32_e32 v10, v9, v5
	v_lshlrev_b32_e32 v9, v9, v10
	v_cmp_ne_u32_e32 vcc, v9, v5
	v_cndmask_b32_e64 v5, 0, 1, vcc
	v_add_u32_e32 v9, 0xfffffc10, v6
	v_or_b32_e32 v5, v10, v5
	v_lshl_or_b32 v6, v9, 12, v7
	v_cmp_gt_i32_e32 vcc, 1, v9
	v_cndmask_b32_e32 v5, v6, v5, vcc
	v_and_b32_e32 v6, 7, v5
	v_cmp_lt_i32_e32 vcc, 5, v6
	v_cmp_eq_u32_e64 s[0:1], 3, v6
	v_lshrrev_b32_e32 v5, 2, v5
	s_or_b64 vcc, s[0:1], vcc
	v_addc_co_u32_e32 v10, vcc, 0, v5, vcc
	ds_read2_b32 v[5:6], v130 offset0:16 offset1:124
	v_cmp_gt_i32_e32 vcc, 31, v9
	v_cndmask_b32_e32 v10, v0, v10, vcc
	v_cmp_ne_u32_e32 vcc, 0, v7
	v_cndmask_b32_e64 v7, 0, 1, vcc
	s_waitcnt lgkmcnt(0)
	v_lshrrev_b32_e32 v11, 16, v5
	v_mul_f16_sdwa v12, v126, v11 dst_sel:DWORD dst_unused:UNUSED_PAD src0_sel:WORD_1 src1_sel:DWORD
	v_fma_f16 v12, v126, v5, v12
	v_cvt_f32_f16_e32 v12, v12
	v_lshl_or_b32 v7, v7, 9, v0
	v_cmp_eq_u32_e32 vcc, s10, v9
	v_cndmask_b32_e32 v7, v10, v7, vcc
	v_cvt_f64_f32_e32 v[9:10], v12
	v_lshrrev_b32_e32 v8, 16, v8
	v_and_or_b32 v12, v8, s11, v7
	v_and_b32_e32 v3, 0xffff, v3
	v_mul_f64 v[7:8], v[9:10], s[2:3]
	v_mov_b32_e32 v9, s9
	v_add_co_u32_e32 v1, vcc, s8, v1
	v_lshl_or_b32 v3, v12, 16, v3
	v_addc_co_u32_e32 v2, vcc, v2, v9, vcc
	global_store_dword v[1:2], v3, off
	v_and_or_b32 v3, v8, s6, v7
	v_cmp_ne_u32_e32 vcc, 0, v3
	v_cndmask_b32_e64 v3, 0, 1, vcc
	v_lshrrev_b32_e32 v7, 8, v8
	v_bfe_u32 v9, v8, 20, 11
	v_and_or_b32 v3, v7, s7, v3
	v_sub_u32_e32 v10, 0x3f1, v9
	v_or_b32_e32 v7, 0x1000, v3
	v_med3_i32 v10, v10, 0, 13
	v_lshrrev_b32_e32 v12, v10, v7
	v_lshlrev_b32_e32 v10, v10, v12
	v_cmp_ne_u32_e32 vcc, v10, v7
	v_mul_f16_sdwa v5, v126, v5 dst_sel:DWORD dst_unused:UNUSED_PAD src0_sel:WORD_1 src1_sel:DWORD
	v_cndmask_b32_e64 v7, 0, 1, vcc
	v_fma_f16 v5, v126, v11, -v5
	v_or_b32_e32 v7, v12, v7
	v_add_u32_e32 v12, 0xfffffc10, v9
	v_cvt_f32_f16_e32 v5, v5
	v_lshl_or_b32 v9, v12, 12, v3
	v_cmp_gt_i32_e32 vcc, 1, v12
	v_cndmask_b32_e32 v7, v9, v7, vcc
	v_and_b32_e32 v9, 7, v7
	v_cmp_lt_i32_e32 vcc, 5, v9
	v_cmp_eq_u32_e64 s[0:1], 3, v9
	v_cvt_f64_f32_e32 v[9:10], v5
	v_lshrrev_b32_e32 v7, 2, v7
	s_or_b64 vcc, s[0:1], vcc
	v_addc_co_u32_e32 v5, vcc, 0, v7, vcc
	v_mul_f64 v[9:10], v[9:10], s[2:3]
	v_cmp_gt_i32_e32 vcc, 31, v12
	v_cndmask_b32_e32 v5, v0, v5, vcc
	v_cmp_ne_u32_e32 vcc, 0, v3
	v_cndmask_b32_e64 v3, 0, 1, vcc
	v_lshl_or_b32 v3, v3, 9, v0
	v_cmp_eq_u32_e32 vcc, s10, v12
	v_cndmask_b32_e32 v3, v5, v3, vcc
	v_lshrrev_b32_e32 v5, 16, v8
	v_and_or_b32 v3, v5, s11, v3
	v_and_or_b32 v5, v10, s6, v9
	v_cmp_ne_u32_e32 vcc, 0, v5
	v_cndmask_b32_e64 v5, 0, 1, vcc
	v_lshrrev_b32_e32 v7, 8, v10
	v_bfe_u32 v8, v10, 20, 11
	v_and_or_b32 v5, v7, s7, v5
	v_sub_u32_e32 v9, 0x3f1, v8
	v_or_b32_e32 v7, 0x1000, v5
	v_med3_i32 v9, v9, 0, 13
	v_lshrrev_b32_e32 v11, v9, v7
	v_lshlrev_b32_e32 v9, v9, v11
	v_cmp_ne_u32_e32 vcc, v9, v7
	v_cndmask_b32_e64 v7, 0, 1, vcc
	v_add_u32_e32 v9, 0xfffffc10, v8
	v_or_b32_e32 v7, v11, v7
	v_lshl_or_b32 v8, v9, 12, v5
	v_cmp_gt_i32_e32 vcc, 1, v9
	v_cndmask_b32_e32 v7, v8, v7, vcc
	v_and_b32_e32 v8, 7, v7
	v_cmp_lt_i32_e32 vcc, 5, v8
	v_cmp_eq_u32_e64 s[0:1], 3, v8
	v_lshrrev_b32_e32 v7, 2, v7
	s_or_b64 vcc, s[0:1], vcc
	v_addc_co_u32_e32 v11, vcc, 0, v7, vcc
	ds_read2_b32 v[7:8], v133 offset0:72 offset1:180
	v_cmp_gt_i32_e32 vcc, 31, v9
	v_cndmask_b32_e32 v11, v0, v11, vcc
	v_cmp_ne_u32_e32 vcc, 0, v5
	v_cndmask_b32_e64 v5, 0, 1, vcc
	s_waitcnt lgkmcnt(0)
	v_lshrrev_b32_e32 v13, 16, v7
	v_mul_f16_sdwa v12, v123, v13 dst_sel:DWORD dst_unused:UNUSED_PAD src0_sel:WORD_1 src1_sel:DWORD
	v_fma_f16 v12, v123, v7, v12
	v_cvt_f32_f16_e32 v12, v12
	v_lshl_or_b32 v5, v5, 9, v0
	v_cmp_eq_u32_e32 vcc, s10, v9
	v_cndmask_b32_e32 v5, v11, v5, vcc
	v_cvt_f64_f32_e32 v[11:12], v12
	v_lshrrev_b32_e32 v9, 16, v10
	v_and_or_b32 v5, v9, s11, v5
	v_and_b32_e32 v3, 0xffff, v3
	v_mul_f64 v[9:10], v[11:12], s[2:3]
	v_lshl_or_b32 v3, v5, 16, v3
	v_mov_b32_e32 v5, s4
	v_add_co_u32_e32 v1, vcc, s5, v1
	v_addc_co_u32_e32 v2, vcc, v2, v5, vcc
	global_store_dword v[1:2], v3, off
	v_and_or_b32 v3, v10, s6, v9
	v_cmp_ne_u32_e32 vcc, 0, v3
	v_cndmask_b32_e64 v3, 0, 1, vcc
	v_lshrrev_b32_e32 v5, 8, v10
	v_bfe_u32 v9, v10, 20, 11
	v_and_or_b32 v3, v5, s7, v3
	v_sub_u32_e32 v11, 0x3f1, v9
	v_or_b32_e32 v5, 0x1000, v3
	v_med3_i32 v11, v11, 0, 13
	v_lshrrev_b32_e32 v12, v11, v5
	v_lshlrev_b32_e32 v11, v11, v12
	v_mul_f16_sdwa v7, v123, v7 dst_sel:DWORD dst_unused:UNUSED_PAD src0_sel:WORD_1 src1_sel:DWORD
	v_cmp_ne_u32_e32 vcc, v11, v5
	v_fma_f16 v7, v123, v13, -v7
	v_cndmask_b32_e64 v5, 0, 1, vcc
	v_add_u32_e32 v9, 0xfffffc10, v9
	v_cvt_f32_f16_e32 v7, v7
	v_or_b32_e32 v5, v12, v5
	v_lshl_or_b32 v11, v9, 12, v3
	v_cmp_gt_i32_e32 vcc, 1, v9
	v_cndmask_b32_e32 v5, v11, v5, vcc
	v_and_b32_e32 v11, 7, v5
	v_cmp_lt_i32_e32 vcc, 5, v11
	v_cmp_eq_u32_e64 s[0:1], 3, v11
	v_cvt_f64_f32_e32 v[11:12], v7
	v_lshrrev_b32_e32 v5, 2, v5
	s_or_b64 vcc, s[0:1], vcc
	v_addc_co_u32_e32 v5, vcc, 0, v5, vcc
	v_mul_f64 v[11:12], v[11:12], s[2:3]
	v_cmp_gt_i32_e32 vcc, 31, v9
	v_cndmask_b32_e32 v5, v0, v5, vcc
	v_cmp_ne_u32_e32 vcc, 0, v3
	v_cndmask_b32_e64 v3, 0, 1, vcc
	v_lshl_or_b32 v3, v3, 9, v0
	v_cmp_eq_u32_e32 vcc, s10, v9
	v_cndmask_b32_e32 v3, v5, v3, vcc
	v_lshrrev_b32_e32 v5, 16, v10
	v_and_or_b32 v3, v5, s11, v3
	v_and_or_b32 v5, v12, s6, v11
	v_cmp_ne_u32_e32 vcc, 0, v5
	v_cndmask_b32_e64 v5, 0, 1, vcc
	v_lshrrev_b32_e32 v7, 8, v12
	v_bfe_u32 v9, v12, 20, 11
	v_and_or_b32 v5, v7, s7, v5
	v_sub_u32_e32 v10, 0x3f1, v9
	v_or_b32_e32 v7, 0x1000, v5
	v_med3_i32 v10, v10, 0, 13
	v_lshrrev_b32_e32 v11, v10, v7
	v_lshlrev_b32_e32 v10, v10, v11
	v_cmp_ne_u32_e32 vcc, v10, v7
	v_cndmask_b32_e64 v7, 0, 1, vcc
	v_add_u32_e32 v9, 0xfffffc10, v9
	v_or_b32_e32 v7, v11, v7
	v_lshl_or_b32 v10, v9, 12, v5
	v_cmp_gt_i32_e32 vcc, 1, v9
	v_cndmask_b32_e32 v7, v10, v7, vcc
	v_and_b32_e32 v10, 7, v7
	v_lshrrev_b32_e32 v11, 16, v4
	v_cmp_lt_i32_e32 vcc, 5, v10
	v_cmp_eq_u32_e64 s[0:1], 3, v10
	v_mul_f16_sdwa v10, v117, v11 dst_sel:DWORD dst_unused:UNUSED_PAD src0_sel:WORD_1 src1_sel:DWORD
	v_fma_f16 v10, v117, v4, v10
	v_lshrrev_b32_e32 v7, 2, v7
	s_or_b64 vcc, s[0:1], vcc
	v_cvt_f32_f16_e32 v10, v10
	v_addc_co_u32_e32 v7, vcc, 0, v7, vcc
	v_cmp_gt_i32_e32 vcc, 31, v9
	v_cndmask_b32_e32 v7, v0, v7, vcc
	v_cmp_ne_u32_e32 vcc, 0, v5
	v_cndmask_b32_e64 v5, 0, 1, vcc
	v_cmp_eq_u32_e32 vcc, s10, v9
	v_cvt_f64_f32_e32 v[9:10], v10
	v_lshl_or_b32 v5, v5, 9, v0
	v_cndmask_b32_e32 v5, v7, v5, vcc
	v_lshrrev_b32_e32 v7, 16, v12
	v_mul_f64 v[9:10], v[9:10], s[2:3]
	v_and_or_b32 v5, v7, s11, v5
	v_and_b32_e32 v3, 0xffff, v3
	v_lshl_or_b32 v3, v5, 16, v3
	v_mov_b32_e32 v5, s4
	v_add_co_u32_e32 v1, vcc, s5, v1
	v_addc_co_u32_e32 v2, vcc, v2, v5, vcc
	global_store_dword v[1:2], v3, off
	v_and_or_b32 v3, v10, s6, v9
	v_cmp_ne_u32_e32 vcc, 0, v3
	v_cndmask_b32_e64 v3, 0, 1, vcc
	v_lshrrev_b32_e32 v5, 8, v10
	v_bfe_u32 v7, v10, 20, 11
	v_and_or_b32 v5, v5, s7, v3
	v_sub_u32_e32 v9, 0x3f1, v7
	v_or_b32_e32 v3, 0x1000, v5
	v_med3_i32 v9, v9, 0, 13
	v_lshrrev_b32_e32 v12, v9, v3
	v_lshlrev_b32_e32 v9, v9, v12
	v_mul_f16_sdwa v4, v117, v4 dst_sel:DWORD dst_unused:UNUSED_PAD src0_sel:WORD_1 src1_sel:DWORD
	v_cmp_ne_u32_e32 vcc, v9, v3
	v_fma_f16 v4, v117, v11, -v4
	v_cndmask_b32_e64 v3, 0, 1, vcc
	v_add_u32_e32 v7, 0xfffffc10, v7
	v_cvt_f32_f16_e32 v4, v4
	v_or_b32_e32 v3, v12, v3
	v_lshl_or_b32 v9, v7, 12, v5
	v_cmp_gt_i32_e32 vcc, 1, v7
	v_cndmask_b32_e32 v3, v9, v3, vcc
	v_and_b32_e32 v9, 7, v3
	v_cmp_lt_i32_e32 vcc, 5, v9
	v_cmp_eq_u32_e64 s[0:1], 3, v9
	v_lshrrev_b32_e32 v9, 2, v3
	v_cvt_f64_f32_e32 v[3:4], v4
	s_or_b64 vcc, s[0:1], vcc
	v_addc_co_u32_e32 v9, vcc, 0, v9, vcc
	v_mul_f64 v[3:4], v[3:4], s[2:3]
	v_cmp_gt_i32_e32 vcc, 31, v7
	v_cndmask_b32_e32 v9, v0, v9, vcc
	v_cmp_ne_u32_e32 vcc, 0, v5
	v_cndmask_b32_e64 v5, 0, 1, vcc
	v_lshl_or_b32 v5, v5, 9, v0
	v_cmp_eq_u32_e32 vcc, s10, v7
	v_cndmask_b32_e32 v5, v9, v5, vcc
	v_and_or_b32 v3, v4, s6, v3
	v_lshrrev_b32_e32 v7, 16, v10
	v_cmp_ne_u32_e32 vcc, 0, v3
	v_and_or_b32 v5, v7, s11, v5
	v_cndmask_b32_e64 v3, 0, 1, vcc
	v_lshrrev_b32_e32 v7, 8, v4
	v_bfe_u32 v9, v4, 20, 11
	v_and_or_b32 v3, v7, s7, v3
	v_sub_u32_e32 v10, 0x3f1, v9
	v_or_b32_e32 v7, 0x1000, v3
	v_med3_i32 v10, v10, 0, 13
	v_lshrrev_b32_e32 v11, v10, v7
	v_lshlrev_b32_e32 v10, v10, v11
	v_cmp_ne_u32_e32 vcc, v10, v7
	v_cndmask_b32_e64 v7, 0, 1, vcc
	v_add_u32_e32 v9, 0xfffffc10, v9
	v_or_b32_e32 v7, v11, v7
	v_lshl_or_b32 v10, v9, 12, v3
	v_cmp_gt_i32_e32 vcc, 1, v9
	v_cndmask_b32_e32 v7, v10, v7, vcc
	v_and_b32_e32 v10, 7, v7
	v_lshrrev_b32_e32 v11, 16, v6
	v_cmp_lt_i32_e32 vcc, 5, v10
	v_cmp_eq_u32_e64 s[0:1], 3, v10
	v_mul_f16_sdwa v10, v120, v11 dst_sel:DWORD dst_unused:UNUSED_PAD src0_sel:WORD_1 src1_sel:DWORD
	v_fma_f16 v10, v120, v6, v10
	v_lshrrev_b32_e32 v7, 2, v7
	s_or_b64 vcc, s[0:1], vcc
	v_cvt_f32_f16_e32 v10, v10
	v_addc_co_u32_e32 v7, vcc, 0, v7, vcc
	v_cmp_gt_i32_e32 vcc, 31, v9
	v_cndmask_b32_e32 v7, v0, v7, vcc
	v_cmp_ne_u32_e32 vcc, 0, v3
	v_cndmask_b32_e64 v3, 0, 1, vcc
	v_cmp_eq_u32_e32 vcc, s10, v9
	v_cvt_f64_f32_e32 v[9:10], v10
	v_lshl_or_b32 v3, v3, 9, v0
	v_cndmask_b32_e32 v3, v7, v3, vcc
	v_lshrrev_b32_e32 v4, 16, v4
	v_and_or_b32 v7, v4, s11, v3
	v_mul_f64 v[3:4], v[9:10], s[2:3]
	v_and_b32_e32 v5, 0xffff, v5
	v_lshl_or_b32 v5, v7, 16, v5
	v_mov_b32_e32 v7, s9
	v_add_co_u32_e32 v1, vcc, s8, v1
	v_addc_co_u32_e32 v2, vcc, v2, v7, vcc
	v_and_or_b32 v3, v4, s6, v3
	v_cmp_ne_u32_e32 vcc, 0, v3
	global_store_dword v[1:2], v5, off
	v_cndmask_b32_e64 v3, 0, 1, vcc
	v_lshrrev_b32_e32 v5, 8, v4
	v_bfe_u32 v7, v4, 20, 11
	v_and_or_b32 v3, v5, s7, v3
	v_sub_u32_e32 v9, 0x3f1, v7
	v_or_b32_e32 v5, 0x1000, v3
	v_med3_i32 v9, v9, 0, 13
	v_lshrrev_b32_e32 v10, v9, v5
	v_lshlrev_b32_e32 v9, v9, v10
	v_mul_f16_sdwa v6, v120, v6 dst_sel:DWORD dst_unused:UNUSED_PAD src0_sel:WORD_1 src1_sel:DWORD
	v_cmp_ne_u32_e32 vcc, v9, v5
	v_fma_f16 v6, v120, v11, -v6
	v_cndmask_b32_e64 v5, 0, 1, vcc
	v_add_u32_e32 v7, 0xfffffc10, v7
	v_cvt_f32_f16_e32 v6, v6
	v_or_b32_e32 v5, v10, v5
	v_lshl_or_b32 v9, v7, 12, v3
	v_cmp_gt_i32_e32 vcc, 1, v7
	v_cndmask_b32_e32 v5, v9, v5, vcc
	v_and_b32_e32 v9, 7, v5
	v_cmp_lt_i32_e32 vcc, 5, v9
	v_cmp_eq_u32_e64 s[0:1], 3, v9
	v_lshrrev_b32_e32 v9, 2, v5
	v_cvt_f64_f32_e32 v[5:6], v6
	s_or_b64 vcc, s[0:1], vcc
	v_addc_co_u32_e32 v9, vcc, 0, v9, vcc
	v_mul_f64 v[5:6], v[5:6], s[2:3]
	v_cmp_gt_i32_e32 vcc, 31, v7
	v_cndmask_b32_e32 v9, v0, v9, vcc
	v_cmp_ne_u32_e32 vcc, 0, v3
	v_cndmask_b32_e64 v3, 0, 1, vcc
	v_lshl_or_b32 v3, v3, 9, v0
	v_cmp_eq_u32_e32 vcc, s10, v7
	v_cndmask_b32_e32 v3, v9, v3, vcc
	v_lshrrev_b32_e32 v4, 16, v4
	v_and_or_b32 v7, v4, s11, v3
	v_and_or_b32 v3, v6, s6, v5
	v_cmp_ne_u32_e32 vcc, 0, v3
	v_cndmask_b32_e64 v3, 0, 1, vcc
	v_lshrrev_b32_e32 v4, 8, v6
	v_bfe_u32 v5, v6, 20, 11
	v_and_or_b32 v3, v4, s7, v3
	v_sub_u32_e32 v9, 0x3f1, v5
	v_or_b32_e32 v4, 0x1000, v3
	v_med3_i32 v9, v9, 0, 13
	v_lshrrev_b32_e32 v10, v9, v4
	v_lshlrev_b32_e32 v9, v9, v10
	v_cmp_ne_u32_e32 vcc, v9, v4
	v_cndmask_b32_e64 v4, 0, 1, vcc
	v_add_u32_e32 v5, 0xfffffc10, v5
	v_or_b32_e32 v4, v10, v4
	v_lshl_or_b32 v9, v5, 12, v3
	v_cmp_gt_i32_e32 vcc, 1, v5
	v_cndmask_b32_e32 v4, v9, v4, vcc
	v_and_b32_e32 v9, 7, v4
	v_cmp_lt_i32_e32 vcc, 5, v9
	v_cmp_eq_u32_e64 s[0:1], 3, v9
	v_lshrrev_b32_e32 v9, 16, v8
	v_lshrrev_b32_e32 v4, 2, v4
	s_or_b64 vcc, s[0:1], vcc
	v_mul_f16_sdwa v10, v118, v9 dst_sel:DWORD dst_unused:UNUSED_PAD src0_sel:WORD_1 src1_sel:DWORD
	v_addc_co_u32_e32 v4, vcc, 0, v4, vcc
	v_fma_f16 v10, v118, v8, v10
	v_cmp_gt_i32_e32 vcc, 31, v5
	v_cvt_f32_f16_e32 v10, v10
	v_cndmask_b32_e32 v4, v0, v4, vcc
	v_cmp_ne_u32_e32 vcc, 0, v3
	v_cndmask_b32_e64 v3, 0, 1, vcc
	v_lshl_or_b32 v3, v3, 9, v0
	v_cmp_eq_u32_e32 vcc, s10, v5
	v_cndmask_b32_e32 v5, v4, v3, vcc
	v_cvt_f64_f32_e32 v[3:4], v10
	v_lshrrev_b32_e32 v6, 16, v6
	v_and_or_b32 v5, v6, s11, v5
	v_and_b32_e32 v6, 0xffff, v7
	v_mul_f64 v[3:4], v[3:4], s[2:3]
	v_lshl_or_b32 v5, v5, 16, v6
	v_mov_b32_e32 v6, s4
	v_add_co_u32_e32 v1, vcc, s5, v1
	v_addc_co_u32_e32 v2, vcc, v2, v6, vcc
	global_store_dword v[1:2], v5, off
	v_and_or_b32 v3, v4, s6, v3
	v_cmp_ne_u32_e32 vcc, 0, v3
	v_cndmask_b32_e64 v3, 0, 1, vcc
	v_lshrrev_b32_e32 v5, 8, v4
	v_bfe_u32 v6, v4, 20, 11
	v_and_or_b32 v3, v5, s7, v3
	v_sub_u32_e32 v7, 0x3f1, v6
	v_or_b32_e32 v5, 0x1000, v3
	v_med3_i32 v7, v7, 0, 13
	v_lshrrev_b32_e32 v10, v7, v5
	v_lshlrev_b32_e32 v7, v7, v10
	v_mul_f16_sdwa v8, v118, v8 dst_sel:DWORD dst_unused:UNUSED_PAD src0_sel:WORD_1 src1_sel:DWORD
	v_cmp_ne_u32_e32 vcc, v7, v5
	v_fma_f16 v8, v118, v9, -v8
	v_cndmask_b32_e64 v5, 0, 1, vcc
	v_add_u32_e32 v7, 0xfffffc10, v6
	v_cvt_f32_f16_e32 v8, v8
	v_or_b32_e32 v5, v10, v5
	v_lshl_or_b32 v6, v7, 12, v3
	v_cmp_gt_i32_e32 vcc, 1, v7
	v_cndmask_b32_e32 v5, v6, v5, vcc
	v_and_b32_e32 v6, 7, v5
	v_cmp_lt_i32_e32 vcc, 5, v6
	v_cmp_eq_u32_e64 s[0:1], 3, v6
	v_lshrrev_b32_e32 v9, 2, v5
	v_cvt_f64_f32_e32 v[5:6], v8
	s_or_b64 vcc, s[0:1], vcc
	v_addc_co_u32_e32 v8, vcc, 0, v9, vcc
	v_mul_f64 v[5:6], v[5:6], s[2:3]
	v_cmp_gt_i32_e32 vcc, 31, v7
	v_cndmask_b32_e32 v8, v0, v8, vcc
	v_cmp_ne_u32_e32 vcc, 0, v3
	v_cndmask_b32_e64 v3, 0, 1, vcc
	v_lshl_or_b32 v3, v3, 9, v0
	v_cmp_eq_u32_e32 vcc, s10, v7
	v_cndmask_b32_e32 v3, v8, v3, vcc
	v_lshrrev_b32_e32 v4, 16, v4
	v_and_or_b32 v9, v4, s11, v3
	v_and_or_b32 v3, v6, s6, v5
	v_cmp_ne_u32_e32 vcc, 0, v3
	v_cndmask_b32_e64 v3, 0, 1, vcc
	v_lshrrev_b32_e32 v4, 8, v6
	v_and_or_b32 v5, v4, s7, v3
	v_bfe_u32 v4, v6, 20, 11
	v_sub_u32_e32 v7, 0x3f1, v4
	v_or_b32_e32 v3, 0x1000, v5
	v_med3_i32 v7, v7, 0, 13
	v_lshrrev_b32_e32 v8, v7, v3
	v_lshlrev_b32_e32 v7, v7, v8
	v_cmp_ne_u32_e32 vcc, v7, v3
	v_cndmask_b32_e64 v3, 0, 1, vcc
	v_add_u32_e32 v7, 0xfffffc10, v4
	v_or_b32_e32 v3, v8, v3
	v_lshl_or_b32 v4, v7, 12, v5
	v_cmp_gt_i32_e32 vcc, 1, v7
	v_cndmask_b32_e32 v3, v4, v3, vcc
	v_and_b32_e32 v4, 7, v3
	v_cmp_lt_i32_e32 vcc, 5, v4
	v_cmp_eq_u32_e64 s[0:1], 3, v4
	v_lshrrev_b32_e32 v3, 2, v3
	s_or_b64 vcc, s[0:1], vcc
	v_addc_co_u32_e32 v8, vcc, 0, v3, vcc
	ds_read2_b32 v[3:4], v121 offset0:48 offset1:156
	v_cmp_gt_i32_e32 vcc, 31, v7
	v_cndmask_b32_e32 v8, v0, v8, vcc
	v_cmp_ne_u32_e32 vcc, 0, v5
	v_cndmask_b32_e64 v5, 0, 1, vcc
	s_waitcnt lgkmcnt(0)
	v_lshrrev_b32_e32 v10, 16, v3
	v_mul_f16_sdwa v11, v114, v10 dst_sel:DWORD dst_unused:UNUSED_PAD src0_sel:WORD_1 src1_sel:DWORD
	v_fma_f16 v11, v114, v3, v11
	v_cvt_f32_f16_e32 v11, v11
	v_lshl_or_b32 v5, v5, 9, v0
	v_cmp_eq_u32_e32 vcc, s10, v7
	v_cndmask_b32_e32 v5, v8, v5, vcc
	v_cvt_f64_f32_e32 v[7:8], v11
	v_lshrrev_b32_e32 v6, 16, v6
	v_and_or_b32 v11, v6, s11, v5
	v_add_co_u32_e32 v1, vcc, s5, v1
	v_mul_f64 v[5:6], v[7:8], s[2:3]
	v_mov_b32_e32 v8, s4
	v_and_b32_e32 v9, 0xffff, v9
	v_addc_co_u32_e32 v2, vcc, v2, v8, vcc
	v_lshl_or_b32 v7, v11, 16, v9
	global_store_dword v[1:2], v7, off
	v_mul_f16_sdwa v3, v114, v3 dst_sel:DWORD dst_unused:UNUSED_PAD src0_sel:WORD_1 src1_sel:DWORD
	v_and_or_b32 v5, v6, s6, v5
	v_cmp_ne_u32_e32 vcc, 0, v5
	v_cndmask_b32_e64 v5, 0, 1, vcc
	v_lshrrev_b32_e32 v7, 8, v6
	v_bfe_u32 v8, v6, 20, 11
	v_and_or_b32 v5, v7, s7, v5
	v_sub_u32_e32 v9, 0x3f1, v8
	v_or_b32_e32 v7, 0x1000, v5
	v_med3_i32 v9, v9, 0, 13
	v_lshrrev_b32_e32 v11, v9, v7
	v_lshlrev_b32_e32 v9, v9, v11
	v_cmp_ne_u32_e32 vcc, v9, v7
	v_fma_f16 v3, v114, v10, -v3
	v_cndmask_b32_e64 v7, 0, 1, vcc
	v_add_u32_e32 v9, 0xfffffc10, v8
	v_cvt_f32_f16_e32 v3, v3
	v_or_b32_e32 v7, v11, v7
	v_lshl_or_b32 v8, v9, 12, v5
	v_cmp_gt_i32_e32 vcc, 1, v9
	v_cndmask_b32_e32 v7, v8, v7, vcc
	v_and_b32_e32 v8, 7, v7
	v_cmp_lt_i32_e32 vcc, 5, v8
	v_cmp_eq_u32_e64 s[0:1], 3, v8
	v_lshrrev_b32_e32 v10, 2, v7
	v_cvt_f64_f32_e32 v[7:8], v3
	s_or_b64 vcc, s[0:1], vcc
	v_addc_co_u32_e32 v3, vcc, 0, v10, vcc
	v_mul_f64 v[7:8], v[7:8], s[2:3]
	v_cmp_gt_i32_e32 vcc, 31, v9
	v_cndmask_b32_e32 v3, v0, v3, vcc
	v_cmp_ne_u32_e32 vcc, 0, v5
	v_cndmask_b32_e64 v5, 0, 1, vcc
	v_lshl_or_b32 v5, v5, 9, v0
	v_cmp_eq_u32_e32 vcc, s10, v9
	v_cndmask_b32_e32 v3, v3, v5, vcc
	v_lshrrev_b32_e32 v5, 16, v6
	v_and_or_b32 v3, v5, s11, v3
	v_and_or_b32 v5, v8, s6, v7
	v_cmp_ne_u32_e32 vcc, 0, v5
	v_cndmask_b32_e64 v5, 0, 1, vcc
	v_lshrrev_b32_e32 v6, 8, v8
	v_and_or_b32 v7, v6, s7, v5
	v_bfe_u32 v6, v8, 20, 11
	v_sub_u32_e32 v9, 0x3f1, v6
	v_or_b32_e32 v5, 0x1000, v7
	v_med3_i32 v9, v9, 0, 13
	v_lshrrev_b32_e32 v10, v9, v5
	v_lshlrev_b32_e32 v9, v9, v10
	v_cmp_ne_u32_e32 vcc, v9, v5
	v_cndmask_b32_e64 v5, 0, 1, vcc
	v_add_u32_e32 v9, 0xfffffc10, v6
	v_or_b32_e32 v5, v10, v5
	v_lshl_or_b32 v6, v9, 12, v7
	v_cmp_gt_i32_e32 vcc, 1, v9
	v_cndmask_b32_e32 v5, v6, v5, vcc
	v_and_b32_e32 v6, 7, v5
	v_cmp_lt_i32_e32 vcc, 5, v6
	v_cmp_eq_u32_e64 s[0:1], 3, v6
	v_lshrrev_b32_e32 v5, 2, v5
	s_or_b64 vcc, s[0:1], vcc
	v_addc_co_u32_e32 v10, vcc, 0, v5, vcc
	ds_read2_b32 v[5:6], v124 offset0:104 offset1:212
	v_cmp_gt_i32_e32 vcc, 31, v9
	v_cndmask_b32_e32 v10, v0, v10, vcc
	v_cmp_ne_u32_e32 vcc, 0, v7
	v_cndmask_b32_e64 v7, 0, 1, vcc
	s_waitcnt lgkmcnt(0)
	v_lshrrev_b32_e32 v11, 16, v5
	v_mul_f16_sdwa v12, v116, v11 dst_sel:DWORD dst_unused:UNUSED_PAD src0_sel:WORD_1 src1_sel:DWORD
	v_fma_f16 v12, v116, v5, v12
	v_cvt_f32_f16_e32 v12, v12
	v_lshl_or_b32 v7, v7, 9, v0
	v_cmp_eq_u32_e32 vcc, s10, v9
	v_cndmask_b32_e32 v7, v10, v7, vcc
	v_cvt_f64_f32_e32 v[9:10], v12
	v_lshrrev_b32_e32 v8, 16, v8
	v_and_or_b32 v12, v8, s11, v7
	v_and_b32_e32 v3, 0xffff, v3
	v_mul_f64 v[7:8], v[9:10], s[2:3]
	v_mov_b32_e32 v9, s9
	v_add_co_u32_e32 v1, vcc, s8, v1
	v_lshl_or_b32 v3, v12, 16, v3
	v_addc_co_u32_e32 v2, vcc, v2, v9, vcc
	global_store_dword v[1:2], v3, off
	v_and_or_b32 v3, v8, s6, v7
	v_cmp_ne_u32_e32 vcc, 0, v3
	v_cndmask_b32_e64 v3, 0, 1, vcc
	v_lshrrev_b32_e32 v7, 8, v8
	v_bfe_u32 v9, v8, 20, 11
	v_and_or_b32 v3, v7, s7, v3
	v_sub_u32_e32 v10, 0x3f1, v9
	v_or_b32_e32 v7, 0x1000, v3
	v_med3_i32 v10, v10, 0, 13
	v_lshrrev_b32_e32 v12, v10, v7
	v_lshlrev_b32_e32 v10, v10, v12
	v_cmp_ne_u32_e32 vcc, v10, v7
	v_mul_f16_sdwa v5, v116, v5 dst_sel:DWORD dst_unused:UNUSED_PAD src0_sel:WORD_1 src1_sel:DWORD
	v_cndmask_b32_e64 v7, 0, 1, vcc
	v_fma_f16 v5, v116, v11, -v5
	v_or_b32_e32 v7, v12, v7
	v_add_u32_e32 v12, 0xfffffc10, v9
	v_cvt_f32_f16_e32 v5, v5
	v_lshl_or_b32 v9, v12, 12, v3
	v_cmp_gt_i32_e32 vcc, 1, v12
	v_cndmask_b32_e32 v7, v9, v7, vcc
	v_and_b32_e32 v9, 7, v7
	v_cmp_lt_i32_e32 vcc, 5, v9
	v_cmp_eq_u32_e64 s[0:1], 3, v9
	v_cvt_f64_f32_e32 v[9:10], v5
	v_lshrrev_b32_e32 v7, 2, v7
	s_or_b64 vcc, s[0:1], vcc
	v_addc_co_u32_e32 v5, vcc, 0, v7, vcc
	v_mul_f64 v[9:10], v[9:10], s[2:3]
	v_cmp_gt_i32_e32 vcc, 31, v12
	v_cndmask_b32_e32 v5, v0, v5, vcc
	v_cmp_ne_u32_e32 vcc, 0, v3
	v_cndmask_b32_e64 v3, 0, 1, vcc
	v_lshl_or_b32 v3, v3, 9, v0
	v_cmp_eq_u32_e32 vcc, s10, v12
	v_cndmask_b32_e32 v3, v5, v3, vcc
	v_lshrrev_b32_e32 v5, 16, v8
	v_and_or_b32 v3, v5, s11, v3
	v_and_or_b32 v5, v10, s6, v9
	v_cmp_ne_u32_e32 vcc, 0, v5
	v_cndmask_b32_e64 v5, 0, 1, vcc
	v_lshrrev_b32_e32 v7, 8, v10
	v_bfe_u32 v8, v10, 20, 11
	v_and_or_b32 v5, v7, s7, v5
	v_sub_u32_e32 v9, 0x3f1, v8
	v_or_b32_e32 v7, 0x1000, v5
	v_med3_i32 v9, v9, 0, 13
	v_lshrrev_b32_e32 v11, v9, v7
	v_lshlrev_b32_e32 v9, v9, v11
	v_cmp_ne_u32_e32 vcc, v9, v7
	v_cndmask_b32_e64 v7, 0, 1, vcc
	v_add_u32_e32 v9, 0xfffffc10, v8
	v_or_b32_e32 v7, v11, v7
	v_lshl_or_b32 v8, v9, 12, v5
	v_cmp_gt_i32_e32 vcc, 1, v9
	v_cndmask_b32_e32 v7, v8, v7, vcc
	v_and_b32_e32 v8, 7, v7
	v_cmp_lt_i32_e32 vcc, 5, v8
	v_cmp_eq_u32_e64 s[0:1], 3, v8
	v_lshrrev_b32_e32 v7, 2, v7
	s_or_b64 vcc, s[0:1], vcc
	v_addc_co_u32_e32 v11, vcc, 0, v7, vcc
	ds_read2_b32 v[7:8], v119 offset0:32 offset1:140
	v_cmp_gt_i32_e32 vcc, 31, v9
	v_cndmask_b32_e32 v11, v0, v11, vcc
	v_cmp_ne_u32_e32 vcc, 0, v5
	v_cndmask_b32_e64 v5, 0, 1, vcc
	s_waitcnt lgkmcnt(0)
	v_lshrrev_b32_e32 v13, 16, v7
	v_mul_f16_sdwa v12, v113, v13 dst_sel:DWORD dst_unused:UNUSED_PAD src0_sel:WORD_1 src1_sel:DWORD
	v_fma_f16 v12, v113, v7, v12
	v_cvt_f32_f16_e32 v12, v12
	v_lshl_or_b32 v5, v5, 9, v0
	v_cmp_eq_u32_e32 vcc, s10, v9
	v_cndmask_b32_e32 v5, v11, v5, vcc
	v_cvt_f64_f32_e32 v[11:12], v12
	v_lshrrev_b32_e32 v9, 16, v10
	v_and_or_b32 v5, v9, s11, v5
	v_and_b32_e32 v3, 0xffff, v3
	v_mul_f64 v[9:10], v[11:12], s[2:3]
	v_lshl_or_b32 v3, v5, 16, v3
	v_mov_b32_e32 v5, s4
	v_add_co_u32_e32 v1, vcc, s5, v1
	v_addc_co_u32_e32 v2, vcc, v2, v5, vcc
	global_store_dword v[1:2], v3, off
	v_and_or_b32 v3, v10, s6, v9
	v_cmp_ne_u32_e32 vcc, 0, v3
	v_cndmask_b32_e64 v3, 0, 1, vcc
	v_lshrrev_b32_e32 v5, 8, v10
	v_bfe_u32 v9, v10, 20, 11
	v_and_or_b32 v3, v5, s7, v3
	v_sub_u32_e32 v11, 0x3f1, v9
	v_or_b32_e32 v5, 0x1000, v3
	v_med3_i32 v11, v11, 0, 13
	v_lshrrev_b32_e32 v12, v11, v5
	v_lshlrev_b32_e32 v11, v11, v12
	v_mul_f16_sdwa v7, v113, v7 dst_sel:DWORD dst_unused:UNUSED_PAD src0_sel:WORD_1 src1_sel:DWORD
	v_cmp_ne_u32_e32 vcc, v11, v5
	v_fma_f16 v7, v113, v13, -v7
	v_cndmask_b32_e64 v5, 0, 1, vcc
	v_add_u32_e32 v9, 0xfffffc10, v9
	v_cvt_f32_f16_e32 v7, v7
	v_or_b32_e32 v5, v12, v5
	v_lshl_or_b32 v11, v9, 12, v3
	v_cmp_gt_i32_e32 vcc, 1, v9
	v_cndmask_b32_e32 v5, v11, v5, vcc
	v_and_b32_e32 v11, 7, v5
	v_cmp_lt_i32_e32 vcc, 5, v11
	v_cmp_eq_u32_e64 s[0:1], 3, v11
	v_cvt_f64_f32_e32 v[11:12], v7
	v_lshrrev_b32_e32 v5, 2, v5
	s_or_b64 vcc, s[0:1], vcc
	v_addc_co_u32_e32 v5, vcc, 0, v5, vcc
	v_mul_f64 v[11:12], v[11:12], s[2:3]
	v_cmp_gt_i32_e32 vcc, 31, v9
	v_cndmask_b32_e32 v5, v0, v5, vcc
	v_cmp_ne_u32_e32 vcc, 0, v3
	v_cndmask_b32_e64 v3, 0, 1, vcc
	v_lshl_or_b32 v3, v3, 9, v0
	v_cmp_eq_u32_e32 vcc, s10, v9
	v_cndmask_b32_e32 v3, v5, v3, vcc
	v_lshrrev_b32_e32 v5, 16, v10
	v_and_or_b32 v3, v5, s11, v3
	v_and_or_b32 v5, v12, s6, v11
	v_cmp_ne_u32_e32 vcc, 0, v5
	v_cndmask_b32_e64 v5, 0, 1, vcc
	v_lshrrev_b32_e32 v7, 8, v12
	v_bfe_u32 v9, v12, 20, 11
	v_and_or_b32 v5, v7, s7, v5
	v_sub_u32_e32 v10, 0x3f1, v9
	v_or_b32_e32 v7, 0x1000, v5
	v_med3_i32 v10, v10, 0, 13
	v_lshrrev_b32_e32 v11, v10, v7
	v_lshlrev_b32_e32 v10, v10, v11
	v_cmp_ne_u32_e32 vcc, v10, v7
	v_cndmask_b32_e64 v7, 0, 1, vcc
	v_add_u32_e32 v9, 0xfffffc10, v9
	v_or_b32_e32 v7, v11, v7
	v_lshl_or_b32 v10, v9, 12, v5
	v_cmp_gt_i32_e32 vcc, 1, v9
	v_cndmask_b32_e32 v7, v10, v7, vcc
	v_and_b32_e32 v10, 7, v7
	v_lshrrev_b32_e32 v11, 16, v4
	v_cmp_lt_i32_e32 vcc, 5, v10
	v_cmp_eq_u32_e64 s[0:1], 3, v10
	v_mul_f16_sdwa v10, v110, v11 dst_sel:DWORD dst_unused:UNUSED_PAD src0_sel:WORD_1 src1_sel:DWORD
	v_fma_f16 v10, v110, v4, v10
	v_lshrrev_b32_e32 v7, 2, v7
	s_or_b64 vcc, s[0:1], vcc
	v_cvt_f32_f16_e32 v10, v10
	v_addc_co_u32_e32 v7, vcc, 0, v7, vcc
	v_cmp_gt_i32_e32 vcc, 31, v9
	v_cndmask_b32_e32 v7, v0, v7, vcc
	v_cmp_ne_u32_e32 vcc, 0, v5
	v_cndmask_b32_e64 v5, 0, 1, vcc
	v_cmp_eq_u32_e32 vcc, s10, v9
	v_cvt_f64_f32_e32 v[9:10], v10
	v_lshl_or_b32 v5, v5, 9, v0
	v_cndmask_b32_e32 v5, v7, v5, vcc
	v_lshrrev_b32_e32 v7, 16, v12
	v_mul_f64 v[9:10], v[9:10], s[2:3]
	v_and_or_b32 v5, v7, s11, v5
	v_and_b32_e32 v3, 0xffff, v3
	v_lshl_or_b32 v3, v5, 16, v3
	v_mov_b32_e32 v5, s4
	v_add_co_u32_e32 v1, vcc, s5, v1
	v_addc_co_u32_e32 v2, vcc, v2, v5, vcc
	global_store_dword v[1:2], v3, off
	v_and_or_b32 v3, v10, s6, v9
	v_cmp_ne_u32_e32 vcc, 0, v3
	v_cndmask_b32_e64 v3, 0, 1, vcc
	v_lshrrev_b32_e32 v5, 8, v10
	v_bfe_u32 v7, v10, 20, 11
	v_and_or_b32 v5, v5, s7, v3
	v_sub_u32_e32 v9, 0x3f1, v7
	v_or_b32_e32 v3, 0x1000, v5
	v_med3_i32 v9, v9, 0, 13
	v_lshrrev_b32_e32 v12, v9, v3
	v_lshlrev_b32_e32 v9, v9, v12
	v_mul_f16_sdwa v4, v110, v4 dst_sel:DWORD dst_unused:UNUSED_PAD src0_sel:WORD_1 src1_sel:DWORD
	v_cmp_ne_u32_e32 vcc, v9, v3
	v_fma_f16 v4, v110, v11, -v4
	v_cndmask_b32_e64 v3, 0, 1, vcc
	v_add_u32_e32 v7, 0xfffffc10, v7
	v_cvt_f32_f16_e32 v4, v4
	v_or_b32_e32 v3, v12, v3
	v_lshl_or_b32 v9, v7, 12, v5
	v_cmp_gt_i32_e32 vcc, 1, v7
	v_cndmask_b32_e32 v3, v9, v3, vcc
	v_and_b32_e32 v9, 7, v3
	v_cmp_lt_i32_e32 vcc, 5, v9
	v_cmp_eq_u32_e64 s[0:1], 3, v9
	v_lshrrev_b32_e32 v9, 2, v3
	v_cvt_f64_f32_e32 v[3:4], v4
	s_or_b64 vcc, s[0:1], vcc
	v_addc_co_u32_e32 v9, vcc, 0, v9, vcc
	v_mul_f64 v[3:4], v[3:4], s[2:3]
	v_cmp_gt_i32_e32 vcc, 31, v7
	v_cndmask_b32_e32 v9, v0, v9, vcc
	v_cmp_ne_u32_e32 vcc, 0, v5
	v_cndmask_b32_e64 v5, 0, 1, vcc
	v_lshl_or_b32 v5, v5, 9, v0
	v_cmp_eq_u32_e32 vcc, s10, v7
	v_cndmask_b32_e32 v5, v9, v5, vcc
	v_and_or_b32 v3, v4, s6, v3
	v_lshrrev_b32_e32 v7, 16, v10
	v_cmp_ne_u32_e32 vcc, 0, v3
	v_and_or_b32 v5, v7, s11, v5
	v_cndmask_b32_e64 v3, 0, 1, vcc
	v_lshrrev_b32_e32 v7, 8, v4
	v_bfe_u32 v9, v4, 20, 11
	v_and_or_b32 v3, v7, s7, v3
	v_sub_u32_e32 v10, 0x3f1, v9
	v_or_b32_e32 v7, 0x1000, v3
	v_med3_i32 v10, v10, 0, 13
	v_lshrrev_b32_e32 v11, v10, v7
	v_lshlrev_b32_e32 v10, v10, v11
	v_cmp_ne_u32_e32 vcc, v10, v7
	v_cndmask_b32_e64 v7, 0, 1, vcc
	v_add_u32_e32 v9, 0xfffffc10, v9
	v_or_b32_e32 v7, v11, v7
	v_lshl_or_b32 v10, v9, 12, v3
	v_cmp_gt_i32_e32 vcc, 1, v9
	v_cndmask_b32_e32 v7, v10, v7, vcc
	v_and_b32_e32 v10, 7, v7
	v_lshrrev_b32_e32 v11, 16, v6
	v_cmp_lt_i32_e32 vcc, 5, v10
	v_cmp_eq_u32_e64 s[0:1], 3, v10
	v_mul_f16_sdwa v10, v109, v11 dst_sel:DWORD dst_unused:UNUSED_PAD src0_sel:WORD_1 src1_sel:DWORD
	v_fma_f16 v10, v109, v6, v10
	v_lshrrev_b32_e32 v7, 2, v7
	s_or_b64 vcc, s[0:1], vcc
	v_cvt_f32_f16_e32 v10, v10
	v_addc_co_u32_e32 v7, vcc, 0, v7, vcc
	v_cmp_gt_i32_e32 vcc, 31, v9
	v_cndmask_b32_e32 v7, v0, v7, vcc
	v_cmp_ne_u32_e32 vcc, 0, v3
	v_cndmask_b32_e64 v3, 0, 1, vcc
	v_cmp_eq_u32_e32 vcc, s10, v9
	v_cvt_f64_f32_e32 v[9:10], v10
	v_lshl_or_b32 v3, v3, 9, v0
	v_cndmask_b32_e32 v3, v7, v3, vcc
	v_lshrrev_b32_e32 v4, 16, v4
	v_and_or_b32 v7, v4, s11, v3
	v_mul_f64 v[3:4], v[9:10], s[2:3]
	v_and_b32_e32 v5, 0xffff, v5
	v_lshl_or_b32 v5, v7, 16, v5
	v_mov_b32_e32 v7, s9
	v_add_co_u32_e32 v1, vcc, s8, v1
	v_addc_co_u32_e32 v2, vcc, v2, v7, vcc
	v_and_or_b32 v3, v4, s6, v3
	v_cmp_ne_u32_e32 vcc, 0, v3
	global_store_dword v[1:2], v5, off
	v_cndmask_b32_e64 v3, 0, 1, vcc
	v_lshrrev_b32_e32 v5, 8, v4
	v_bfe_u32 v7, v4, 20, 11
	v_and_or_b32 v3, v5, s7, v3
	v_sub_u32_e32 v9, 0x3f1, v7
	v_or_b32_e32 v5, 0x1000, v3
	v_med3_i32 v9, v9, 0, 13
	v_lshrrev_b32_e32 v10, v9, v5
	v_lshlrev_b32_e32 v9, v9, v10
	v_mul_f16_sdwa v6, v109, v6 dst_sel:DWORD dst_unused:UNUSED_PAD src0_sel:WORD_1 src1_sel:DWORD
	v_cmp_ne_u32_e32 vcc, v9, v5
	v_fma_f16 v6, v109, v11, -v6
	v_cndmask_b32_e64 v5, 0, 1, vcc
	v_add_u32_e32 v7, 0xfffffc10, v7
	v_cvt_f32_f16_e32 v6, v6
	v_or_b32_e32 v5, v10, v5
	v_lshl_or_b32 v9, v7, 12, v3
	v_cmp_gt_i32_e32 vcc, 1, v7
	v_cndmask_b32_e32 v5, v9, v5, vcc
	v_and_b32_e32 v9, 7, v5
	v_cmp_lt_i32_e32 vcc, 5, v9
	v_cmp_eq_u32_e64 s[0:1], 3, v9
	v_lshrrev_b32_e32 v9, 2, v5
	v_cvt_f64_f32_e32 v[5:6], v6
	s_or_b64 vcc, s[0:1], vcc
	v_addc_co_u32_e32 v9, vcc, 0, v9, vcc
	v_mul_f64 v[5:6], v[5:6], s[2:3]
	v_cmp_gt_i32_e32 vcc, 31, v7
	v_cndmask_b32_e32 v9, v0, v9, vcc
	v_cmp_ne_u32_e32 vcc, 0, v3
	v_cndmask_b32_e64 v3, 0, 1, vcc
	v_lshl_or_b32 v3, v3, 9, v0
	v_cmp_eq_u32_e32 vcc, s10, v7
	v_cndmask_b32_e32 v3, v9, v3, vcc
	v_lshrrev_b32_e32 v4, 16, v4
	v_and_or_b32 v7, v4, s11, v3
	v_and_or_b32 v3, v6, s6, v5
	v_cmp_ne_u32_e32 vcc, 0, v3
	v_cndmask_b32_e64 v3, 0, 1, vcc
	v_lshrrev_b32_e32 v4, 8, v6
	v_bfe_u32 v5, v6, 20, 11
	v_and_or_b32 v3, v4, s7, v3
	v_sub_u32_e32 v9, 0x3f1, v5
	v_or_b32_e32 v4, 0x1000, v3
	v_med3_i32 v9, v9, 0, 13
	v_lshrrev_b32_e32 v10, v9, v4
	v_lshlrev_b32_e32 v9, v9, v10
	v_cmp_ne_u32_e32 vcc, v9, v4
	v_cndmask_b32_e64 v4, 0, 1, vcc
	v_add_u32_e32 v5, 0xfffffc10, v5
	v_or_b32_e32 v4, v10, v4
	v_lshl_or_b32 v9, v5, 12, v3
	v_cmp_gt_i32_e32 vcc, 1, v5
	v_cndmask_b32_e32 v4, v9, v4, vcc
	v_and_b32_e32 v9, 7, v4
	v_cmp_lt_i32_e32 vcc, 5, v9
	v_cmp_eq_u32_e64 s[0:1], 3, v9
	v_lshrrev_b32_e32 v9, 16, v8
	v_lshrrev_b32_e32 v4, 2, v4
	s_or_b64 vcc, s[0:1], vcc
	v_mul_f16_sdwa v10, v108, v9 dst_sel:DWORD dst_unused:UNUSED_PAD src0_sel:WORD_1 src1_sel:DWORD
	v_addc_co_u32_e32 v4, vcc, 0, v4, vcc
	v_fma_f16 v10, v108, v8, v10
	v_cmp_gt_i32_e32 vcc, 31, v5
	v_cvt_f32_f16_e32 v10, v10
	v_cndmask_b32_e32 v4, v0, v4, vcc
	v_cmp_ne_u32_e32 vcc, 0, v3
	v_cndmask_b32_e64 v3, 0, 1, vcc
	v_lshl_or_b32 v3, v3, 9, v0
	v_cmp_eq_u32_e32 vcc, s10, v5
	v_cndmask_b32_e32 v5, v4, v3, vcc
	v_cvt_f64_f32_e32 v[3:4], v10
	v_lshrrev_b32_e32 v6, 16, v6
	v_and_or_b32 v5, v6, s11, v5
	v_and_b32_e32 v6, 0xffff, v7
	v_mul_f64 v[3:4], v[3:4], s[2:3]
	v_lshl_or_b32 v5, v5, 16, v6
	v_mov_b32_e32 v6, s4
	v_add_co_u32_e32 v1, vcc, s5, v1
	v_addc_co_u32_e32 v2, vcc, v2, v6, vcc
	global_store_dword v[1:2], v5, off
	v_and_or_b32 v3, v4, s6, v3
	v_cmp_ne_u32_e32 vcc, 0, v3
	v_cndmask_b32_e64 v3, 0, 1, vcc
	v_lshrrev_b32_e32 v5, 8, v4
	v_bfe_u32 v6, v4, 20, 11
	v_and_or_b32 v3, v5, s7, v3
	v_sub_u32_e32 v7, 0x3f1, v6
	v_or_b32_e32 v5, 0x1000, v3
	v_med3_i32 v7, v7, 0, 13
	v_lshrrev_b32_e32 v10, v7, v5
	v_lshlrev_b32_e32 v7, v7, v10
	v_mul_f16_sdwa v8, v108, v8 dst_sel:DWORD dst_unused:UNUSED_PAD src0_sel:WORD_1 src1_sel:DWORD
	v_cmp_ne_u32_e32 vcc, v7, v5
	v_fma_f16 v8, v108, v9, -v8
	v_cndmask_b32_e64 v5, 0, 1, vcc
	v_add_u32_e32 v7, 0xfffffc10, v6
	v_cvt_f32_f16_e32 v8, v8
	v_or_b32_e32 v5, v10, v5
	v_lshl_or_b32 v6, v7, 12, v3
	v_cmp_gt_i32_e32 vcc, 1, v7
	v_cndmask_b32_e32 v5, v6, v5, vcc
	v_and_b32_e32 v6, 7, v5
	v_cmp_lt_i32_e32 vcc, 5, v6
	v_cmp_eq_u32_e64 s[0:1], 3, v6
	v_lshrrev_b32_e32 v9, 2, v5
	v_cvt_f64_f32_e32 v[5:6], v8
	s_or_b64 vcc, s[0:1], vcc
	v_addc_co_u32_e32 v8, vcc, 0, v9, vcc
	v_mul_f64 v[5:6], v[5:6], s[2:3]
	v_cmp_gt_i32_e32 vcc, 31, v7
	v_cndmask_b32_e32 v8, v0, v8, vcc
	v_cmp_ne_u32_e32 vcc, 0, v3
	v_cndmask_b32_e64 v3, 0, 1, vcc
	v_lshl_or_b32 v3, v3, 9, v0
	v_cmp_eq_u32_e32 vcc, s10, v7
	v_cndmask_b32_e32 v3, v8, v3, vcc
	v_lshrrev_b32_e32 v4, 16, v4
	v_and_or_b32 v9, v4, s11, v3
	v_and_or_b32 v3, v6, s6, v5
	v_cmp_ne_u32_e32 vcc, 0, v3
	v_cndmask_b32_e64 v3, 0, 1, vcc
	v_lshrrev_b32_e32 v4, 8, v6
	v_and_or_b32 v5, v4, s7, v3
	v_bfe_u32 v4, v6, 20, 11
	v_sub_u32_e32 v7, 0x3f1, v4
	v_or_b32_e32 v3, 0x1000, v5
	v_med3_i32 v7, v7, 0, 13
	v_lshrrev_b32_e32 v8, v7, v3
	v_lshlrev_b32_e32 v7, v7, v8
	v_cmp_ne_u32_e32 vcc, v7, v3
	v_cndmask_b32_e64 v3, 0, 1, vcc
	v_add_u32_e32 v7, 0xfffffc10, v4
	v_or_b32_e32 v3, v8, v3
	v_lshl_or_b32 v4, v7, 12, v5
	v_cmp_gt_i32_e32 vcc, 1, v7
	v_cndmask_b32_e32 v3, v4, v3, vcc
	v_and_b32_e32 v4, 7, v3
	v_cmp_lt_i32_e32 vcc, 5, v4
	v_cmp_eq_u32_e64 s[0:1], 3, v4
	v_lshrrev_b32_e32 v3, 2, v3
	s_or_b64 vcc, s[0:1], vcc
	v_addc_co_u32_e32 v8, vcc, 0, v3, vcc
	ds_read2_b32 v[3:4], v111 offset0:136 offset1:244
	v_cmp_gt_i32_e32 vcc, 31, v7
	v_cndmask_b32_e32 v8, v0, v8, vcc
	v_cmp_ne_u32_e32 vcc, 0, v5
	v_cndmask_b32_e64 v5, 0, 1, vcc
	s_waitcnt lgkmcnt(0)
	v_lshrrev_b32_e32 v10, 16, v3
	v_mul_f16_sdwa v11, v107, v10 dst_sel:DWORD dst_unused:UNUSED_PAD src0_sel:WORD_1 src1_sel:DWORD
	v_fma_f16 v11, v107, v3, v11
	v_cvt_f32_f16_e32 v11, v11
	v_lshl_or_b32 v5, v5, 9, v0
	v_cmp_eq_u32_e32 vcc, s10, v7
	v_cndmask_b32_e32 v5, v8, v5, vcc
	v_cvt_f64_f32_e32 v[7:8], v11
	v_lshrrev_b32_e32 v6, 16, v6
	v_and_or_b32 v11, v6, s11, v5
	v_add_co_u32_e32 v1, vcc, s5, v1
	v_mul_f64 v[5:6], v[7:8], s[2:3]
	v_mov_b32_e32 v8, s4
	v_and_b32_e32 v9, 0xffff, v9
	v_addc_co_u32_e32 v2, vcc, v2, v8, vcc
	v_lshl_or_b32 v7, v11, 16, v9
	global_store_dword v[1:2], v7, off
	v_mul_f16_sdwa v3, v107, v3 dst_sel:DWORD dst_unused:UNUSED_PAD src0_sel:WORD_1 src1_sel:DWORD
	v_and_or_b32 v5, v6, s6, v5
	v_cmp_ne_u32_e32 vcc, 0, v5
	v_cndmask_b32_e64 v5, 0, 1, vcc
	v_lshrrev_b32_e32 v7, 8, v6
	v_bfe_u32 v8, v6, 20, 11
	v_and_or_b32 v5, v7, s7, v5
	v_sub_u32_e32 v9, 0x3f1, v8
	v_or_b32_e32 v7, 0x1000, v5
	v_med3_i32 v9, v9, 0, 13
	v_lshrrev_b32_e32 v11, v9, v7
	v_lshlrev_b32_e32 v9, v9, v11
	v_cmp_ne_u32_e32 vcc, v9, v7
	v_fma_f16 v3, v107, v10, -v3
	v_cndmask_b32_e64 v7, 0, 1, vcc
	v_add_u32_e32 v9, 0xfffffc10, v8
	v_cvt_f32_f16_e32 v3, v3
	v_or_b32_e32 v7, v11, v7
	v_lshl_or_b32 v8, v9, 12, v5
	v_cmp_gt_i32_e32 vcc, 1, v9
	v_cndmask_b32_e32 v7, v8, v7, vcc
	v_and_b32_e32 v8, 7, v7
	v_cmp_lt_i32_e32 vcc, 5, v8
	v_cmp_eq_u32_e64 s[0:1], 3, v8
	v_lshrrev_b32_e32 v10, 2, v7
	v_cvt_f64_f32_e32 v[7:8], v3
	s_or_b64 vcc, s[0:1], vcc
	v_addc_co_u32_e32 v3, vcc, 0, v10, vcc
	v_mul_f64 v[7:8], v[7:8], s[2:3]
	v_cmp_gt_i32_e32 vcc, 31, v9
	v_cndmask_b32_e32 v3, v0, v3, vcc
	v_cmp_ne_u32_e32 vcc, 0, v5
	v_cndmask_b32_e64 v5, 0, 1, vcc
	v_lshl_or_b32 v5, v5, 9, v0
	v_cmp_eq_u32_e32 vcc, s10, v9
	v_cndmask_b32_e32 v3, v3, v5, vcc
	v_lshrrev_b32_e32 v5, 16, v6
	v_and_or_b32 v3, v5, s11, v3
	v_and_or_b32 v5, v8, s6, v7
	v_cmp_ne_u32_e32 vcc, 0, v5
	v_cndmask_b32_e64 v5, 0, 1, vcc
	v_lshrrev_b32_e32 v6, 8, v8
	v_and_or_b32 v7, v6, s7, v5
	v_bfe_u32 v6, v8, 20, 11
	v_sub_u32_e32 v9, 0x3f1, v6
	v_or_b32_e32 v5, 0x1000, v7
	v_med3_i32 v9, v9, 0, 13
	v_lshrrev_b32_e32 v10, v9, v5
	v_lshlrev_b32_e32 v9, v9, v10
	v_cmp_ne_u32_e32 vcc, v9, v5
	v_cndmask_b32_e64 v5, 0, 1, vcc
	v_add_u32_e32 v9, 0xfffffc10, v6
	v_or_b32_e32 v5, v10, v5
	v_lshl_or_b32 v6, v9, 12, v7
	v_cmp_gt_i32_e32 vcc, 1, v9
	v_cndmask_b32_e32 v5, v6, v5, vcc
	v_and_b32_e32 v6, 7, v5
	v_cmp_lt_i32_e32 vcc, 5, v6
	v_cmp_eq_u32_e64 s[0:1], 3, v6
	v_lshrrev_b32_e32 v5, 2, v5
	s_or_b64 vcc, s[0:1], vcc
	v_addc_co_u32_e32 v10, vcc, 0, v5, vcc
	ds_read2_b32 v[5:6], v115 offset0:64 offset1:172
	v_cmp_gt_i32_e32 vcc, 31, v9
	v_cndmask_b32_e32 v10, v0, v10, vcc
	v_cmp_ne_u32_e32 vcc, 0, v7
	v_cndmask_b32_e64 v7, 0, 1, vcc
	s_waitcnt lgkmcnt(0)
	v_lshrrev_b32_e32 v11, 16, v5
	v_mul_f16_sdwa v12, v105, v11 dst_sel:DWORD dst_unused:UNUSED_PAD src0_sel:WORD_1 src1_sel:DWORD
	v_fma_f16 v12, v105, v5, v12
	v_cvt_f32_f16_e32 v12, v12
	v_lshl_or_b32 v7, v7, 9, v0
	v_cmp_eq_u32_e32 vcc, s10, v9
	v_cndmask_b32_e32 v7, v10, v7, vcc
	v_cvt_f64_f32_e32 v[9:10], v12
	v_lshrrev_b32_e32 v8, 16, v8
	v_and_or_b32 v12, v8, s11, v7
	v_and_b32_e32 v3, 0xffff, v3
	v_mul_f64 v[7:8], v[9:10], s[2:3]
	v_mov_b32_e32 v9, s9
	v_add_co_u32_e32 v1, vcc, s8, v1
	v_lshl_or_b32 v3, v12, 16, v3
	v_addc_co_u32_e32 v2, vcc, v2, v9, vcc
	global_store_dword v[1:2], v3, off
	v_and_or_b32 v3, v8, s6, v7
	v_cmp_ne_u32_e32 vcc, 0, v3
	v_cndmask_b32_e64 v3, 0, 1, vcc
	v_lshrrev_b32_e32 v7, 8, v8
	v_bfe_u32 v9, v8, 20, 11
	v_and_or_b32 v3, v7, s7, v3
	v_sub_u32_e32 v10, 0x3f1, v9
	v_or_b32_e32 v7, 0x1000, v3
	v_med3_i32 v10, v10, 0, 13
	v_lshrrev_b32_e32 v12, v10, v7
	v_lshlrev_b32_e32 v10, v10, v12
	v_cmp_ne_u32_e32 vcc, v10, v7
	v_mul_f16_sdwa v5, v105, v5 dst_sel:DWORD dst_unused:UNUSED_PAD src0_sel:WORD_1 src1_sel:DWORD
	v_cndmask_b32_e64 v7, 0, 1, vcc
	v_fma_f16 v5, v105, v11, -v5
	v_or_b32_e32 v7, v12, v7
	v_add_u32_e32 v12, 0xfffffc10, v9
	v_cvt_f32_f16_e32 v5, v5
	v_lshl_or_b32 v9, v12, 12, v3
	v_cmp_gt_i32_e32 vcc, 1, v12
	v_cndmask_b32_e32 v7, v9, v7, vcc
	v_and_b32_e32 v9, 7, v7
	v_cmp_lt_i32_e32 vcc, 5, v9
	v_cmp_eq_u32_e64 s[0:1], 3, v9
	v_cvt_f64_f32_e32 v[9:10], v5
	v_lshrrev_b32_e32 v7, 2, v7
	s_or_b64 vcc, s[0:1], vcc
	v_addc_co_u32_e32 v5, vcc, 0, v7, vcc
	v_mul_f64 v[9:10], v[9:10], s[2:3]
	v_cmp_gt_i32_e32 vcc, 31, v12
	v_cndmask_b32_e32 v5, v0, v5, vcc
	v_cmp_ne_u32_e32 vcc, 0, v3
	v_cndmask_b32_e64 v3, 0, 1, vcc
	v_lshl_or_b32 v3, v3, 9, v0
	v_cmp_eq_u32_e32 vcc, s10, v12
	v_cndmask_b32_e32 v3, v5, v3, vcc
	v_lshrrev_b32_e32 v5, 16, v8
	v_and_or_b32 v3, v5, s11, v3
	v_and_or_b32 v5, v10, s6, v9
	v_cmp_ne_u32_e32 vcc, 0, v5
	v_cndmask_b32_e64 v5, 0, 1, vcc
	v_lshrrev_b32_e32 v7, 8, v10
	v_bfe_u32 v8, v10, 20, 11
	v_and_or_b32 v5, v7, s7, v5
	v_sub_u32_e32 v9, 0x3f1, v8
	v_or_b32_e32 v7, 0x1000, v5
	v_med3_i32 v9, v9, 0, 13
	v_lshrrev_b32_e32 v11, v9, v7
	v_lshlrev_b32_e32 v9, v9, v11
	v_cmp_ne_u32_e32 vcc, v9, v7
	v_cndmask_b32_e64 v7, 0, 1, vcc
	v_add_u32_e32 v9, 0xfffffc10, v8
	v_or_b32_e32 v7, v11, v7
	v_lshl_or_b32 v8, v9, 12, v5
	v_cmp_gt_i32_e32 vcc, 1, v9
	v_cndmask_b32_e32 v7, v8, v7, vcc
	v_and_b32_e32 v8, 7, v7
	v_cmp_lt_i32_e32 vcc, 5, v8
	v_cmp_eq_u32_e64 s[0:1], 3, v8
	v_lshrrev_b32_e32 v7, 2, v7
	s_or_b64 vcc, s[0:1], vcc
	v_addc_co_u32_e32 v11, vcc, 0, v7, vcc
	ds_read2_b32 v[7:8], v112 offset0:120 offset1:228
	v_cmp_gt_i32_e32 vcc, 31, v9
	v_cndmask_b32_e32 v11, v0, v11, vcc
	v_cmp_ne_u32_e32 vcc, 0, v5
	v_cndmask_b32_e64 v5, 0, 1, vcc
	s_waitcnt lgkmcnt(0)
	v_lshrrev_b32_e32 v13, 16, v7
	v_mul_f16_sdwa v12, v103, v13 dst_sel:DWORD dst_unused:UNUSED_PAD src0_sel:WORD_1 src1_sel:DWORD
	v_fma_f16 v12, v103, v7, v12
	v_cvt_f32_f16_e32 v12, v12
	v_lshl_or_b32 v5, v5, 9, v0
	v_cmp_eq_u32_e32 vcc, s10, v9
	v_cndmask_b32_e32 v5, v11, v5, vcc
	v_cvt_f64_f32_e32 v[11:12], v12
	v_lshrrev_b32_e32 v9, 16, v10
	v_and_or_b32 v5, v9, s11, v5
	v_and_b32_e32 v3, 0xffff, v3
	v_mul_f64 v[9:10], v[11:12], s[2:3]
	v_lshl_or_b32 v3, v5, 16, v3
	v_mov_b32_e32 v5, s4
	v_add_co_u32_e32 v1, vcc, s5, v1
	v_addc_co_u32_e32 v2, vcc, v2, v5, vcc
	global_store_dword v[1:2], v3, off
	v_and_or_b32 v3, v10, s6, v9
	v_cmp_ne_u32_e32 vcc, 0, v3
	v_cndmask_b32_e64 v3, 0, 1, vcc
	v_lshrrev_b32_e32 v5, 8, v10
	v_bfe_u32 v9, v10, 20, 11
	v_and_or_b32 v3, v5, s7, v3
	v_sub_u32_e32 v11, 0x3f1, v9
	v_or_b32_e32 v5, 0x1000, v3
	v_med3_i32 v11, v11, 0, 13
	v_lshrrev_b32_e32 v12, v11, v5
	v_lshlrev_b32_e32 v11, v11, v12
	v_mul_f16_sdwa v7, v103, v7 dst_sel:DWORD dst_unused:UNUSED_PAD src0_sel:WORD_1 src1_sel:DWORD
	v_cmp_ne_u32_e32 vcc, v11, v5
	v_fma_f16 v7, v103, v13, -v7
	v_cndmask_b32_e64 v5, 0, 1, vcc
	v_add_u32_e32 v9, 0xfffffc10, v9
	v_cvt_f32_f16_e32 v7, v7
	v_or_b32_e32 v5, v12, v5
	v_lshl_or_b32 v11, v9, 12, v3
	v_cmp_gt_i32_e32 vcc, 1, v9
	v_cndmask_b32_e32 v5, v11, v5, vcc
	v_and_b32_e32 v11, 7, v5
	v_cmp_lt_i32_e32 vcc, 5, v11
	v_cmp_eq_u32_e64 s[0:1], 3, v11
	v_cvt_f64_f32_e32 v[11:12], v7
	v_lshrrev_b32_e32 v5, 2, v5
	s_or_b64 vcc, s[0:1], vcc
	v_addc_co_u32_e32 v5, vcc, 0, v5, vcc
	v_mul_f64 v[11:12], v[11:12], s[2:3]
	v_cmp_gt_i32_e32 vcc, 31, v9
	v_cndmask_b32_e32 v5, v0, v5, vcc
	v_cmp_ne_u32_e32 vcc, 0, v3
	v_cndmask_b32_e64 v3, 0, 1, vcc
	v_lshl_or_b32 v3, v3, 9, v0
	v_cmp_eq_u32_e32 vcc, s10, v9
	v_cndmask_b32_e32 v3, v5, v3, vcc
	v_lshrrev_b32_e32 v5, 16, v10
	v_and_or_b32 v3, v5, s11, v3
	v_and_or_b32 v5, v12, s6, v11
	v_cmp_ne_u32_e32 vcc, 0, v5
	v_cndmask_b32_e64 v5, 0, 1, vcc
	v_lshrrev_b32_e32 v7, 8, v12
	v_bfe_u32 v9, v12, 20, 11
	v_and_or_b32 v5, v7, s7, v5
	v_sub_u32_e32 v10, 0x3f1, v9
	v_or_b32_e32 v7, 0x1000, v5
	v_med3_i32 v10, v10, 0, 13
	v_lshrrev_b32_e32 v11, v10, v7
	v_lshlrev_b32_e32 v10, v10, v11
	v_cmp_ne_u32_e32 vcc, v10, v7
	v_cndmask_b32_e64 v7, 0, 1, vcc
	v_add_u32_e32 v9, 0xfffffc10, v9
	v_or_b32_e32 v7, v11, v7
	v_lshl_or_b32 v10, v9, 12, v5
	v_cmp_gt_i32_e32 vcc, 1, v9
	v_cndmask_b32_e32 v7, v10, v7, vcc
	v_and_b32_e32 v10, 7, v7
	v_lshrrev_b32_e32 v11, 16, v4
	v_cmp_lt_i32_e32 vcc, 5, v10
	v_cmp_eq_u32_e64 s[0:1], 3, v10
	v_mul_f16_sdwa v10, v100, v11 dst_sel:DWORD dst_unused:UNUSED_PAD src0_sel:WORD_1 src1_sel:DWORD
	v_fma_f16 v10, v100, v4, v10
	v_lshrrev_b32_e32 v7, 2, v7
	s_or_b64 vcc, s[0:1], vcc
	v_cvt_f32_f16_e32 v10, v10
	v_addc_co_u32_e32 v7, vcc, 0, v7, vcc
	v_cmp_gt_i32_e32 vcc, 31, v9
	v_cndmask_b32_e32 v7, v0, v7, vcc
	v_cmp_ne_u32_e32 vcc, 0, v5
	v_cndmask_b32_e64 v5, 0, 1, vcc
	v_cmp_eq_u32_e32 vcc, s10, v9
	v_cvt_f64_f32_e32 v[9:10], v10
	v_lshl_or_b32 v5, v5, 9, v0
	v_cndmask_b32_e32 v5, v7, v5, vcc
	v_lshrrev_b32_e32 v7, 16, v12
	v_mul_f64 v[9:10], v[9:10], s[2:3]
	v_and_or_b32 v5, v7, s11, v5
	v_and_b32_e32 v3, 0xffff, v3
	v_lshl_or_b32 v3, v5, 16, v3
	v_mov_b32_e32 v5, s4
	v_add_co_u32_e32 v1, vcc, s5, v1
	v_addc_co_u32_e32 v2, vcc, v2, v5, vcc
	global_store_dword v[1:2], v3, off
	v_and_or_b32 v3, v10, s6, v9
	v_cmp_ne_u32_e32 vcc, 0, v3
	v_cndmask_b32_e64 v3, 0, 1, vcc
	v_lshrrev_b32_e32 v5, 8, v10
	v_bfe_u32 v7, v10, 20, 11
	v_and_or_b32 v5, v5, s7, v3
	v_sub_u32_e32 v9, 0x3f1, v7
	v_or_b32_e32 v3, 0x1000, v5
	v_med3_i32 v9, v9, 0, 13
	v_lshrrev_b32_e32 v12, v9, v3
	v_lshlrev_b32_e32 v9, v9, v12
	v_mul_f16_sdwa v4, v100, v4 dst_sel:DWORD dst_unused:UNUSED_PAD src0_sel:WORD_1 src1_sel:DWORD
	v_cmp_ne_u32_e32 vcc, v9, v3
	v_fma_f16 v4, v100, v11, -v4
	v_cndmask_b32_e64 v3, 0, 1, vcc
	v_add_u32_e32 v7, 0xfffffc10, v7
	v_cvt_f32_f16_e32 v4, v4
	v_or_b32_e32 v3, v12, v3
	v_lshl_or_b32 v9, v7, 12, v5
	v_cmp_gt_i32_e32 vcc, 1, v7
	v_cndmask_b32_e32 v3, v9, v3, vcc
	v_and_b32_e32 v9, 7, v3
	v_cmp_lt_i32_e32 vcc, 5, v9
	v_cmp_eq_u32_e64 s[0:1], 3, v9
	v_lshrrev_b32_e32 v9, 2, v3
	v_cvt_f64_f32_e32 v[3:4], v4
	s_or_b64 vcc, s[0:1], vcc
	v_addc_co_u32_e32 v9, vcc, 0, v9, vcc
	v_mul_f64 v[3:4], v[3:4], s[2:3]
	v_cmp_gt_i32_e32 vcc, 31, v7
	v_cndmask_b32_e32 v9, v0, v9, vcc
	v_cmp_ne_u32_e32 vcc, 0, v5
	v_cndmask_b32_e64 v5, 0, 1, vcc
	v_lshl_or_b32 v5, v5, 9, v0
	v_cmp_eq_u32_e32 vcc, s10, v7
	v_cndmask_b32_e32 v5, v9, v5, vcc
	v_and_or_b32 v3, v4, s6, v3
	v_lshrrev_b32_e32 v7, 16, v10
	v_cmp_ne_u32_e32 vcc, 0, v3
	v_and_or_b32 v5, v7, s11, v5
	v_cndmask_b32_e64 v3, 0, 1, vcc
	v_lshrrev_b32_e32 v7, 8, v4
	v_bfe_u32 v9, v4, 20, 11
	v_and_or_b32 v3, v7, s7, v3
	v_sub_u32_e32 v10, 0x3f1, v9
	v_or_b32_e32 v7, 0x1000, v3
	v_med3_i32 v10, v10, 0, 13
	v_lshrrev_b32_e32 v11, v10, v7
	v_lshlrev_b32_e32 v10, v10, v11
	v_cmp_ne_u32_e32 vcc, v10, v7
	v_cndmask_b32_e64 v7, 0, 1, vcc
	v_add_u32_e32 v9, 0xfffffc10, v9
	v_or_b32_e32 v7, v11, v7
	v_lshl_or_b32 v10, v9, 12, v3
	v_cmp_gt_i32_e32 vcc, 1, v9
	v_cndmask_b32_e32 v7, v10, v7, vcc
	v_and_b32_e32 v10, 7, v7
	v_lshrrev_b32_e32 v11, 16, v6
	v_cmp_lt_i32_e32 vcc, 5, v10
	v_cmp_eq_u32_e64 s[0:1], 3, v10
	v_mul_f16_sdwa v10, v98, v11 dst_sel:DWORD dst_unused:UNUSED_PAD src0_sel:WORD_1 src1_sel:DWORD
	v_fma_f16 v10, v98, v6, v10
	v_lshrrev_b32_e32 v7, 2, v7
	s_or_b64 vcc, s[0:1], vcc
	v_cvt_f32_f16_e32 v10, v10
	v_addc_co_u32_e32 v7, vcc, 0, v7, vcc
	v_cmp_gt_i32_e32 vcc, 31, v9
	v_cndmask_b32_e32 v7, v0, v7, vcc
	v_cmp_ne_u32_e32 vcc, 0, v3
	v_cndmask_b32_e64 v3, 0, 1, vcc
	v_cmp_eq_u32_e32 vcc, s10, v9
	v_cvt_f64_f32_e32 v[9:10], v10
	v_lshl_or_b32 v3, v3, 9, v0
	v_cndmask_b32_e32 v3, v7, v3, vcc
	v_lshrrev_b32_e32 v4, 16, v4
	v_and_or_b32 v7, v4, s11, v3
	v_mul_f64 v[3:4], v[9:10], s[2:3]
	v_and_b32_e32 v5, 0xffff, v5
	v_lshl_or_b32 v5, v7, 16, v5
	v_mov_b32_e32 v7, s9
	v_add_co_u32_e32 v1, vcc, s8, v1
	v_addc_co_u32_e32 v2, vcc, v2, v7, vcc
	v_and_or_b32 v3, v4, s6, v3
	v_cmp_ne_u32_e32 vcc, 0, v3
	global_store_dword v[1:2], v5, off
	v_cndmask_b32_e64 v3, 0, 1, vcc
	v_lshrrev_b32_e32 v5, 8, v4
	v_bfe_u32 v7, v4, 20, 11
	v_and_or_b32 v3, v5, s7, v3
	v_sub_u32_e32 v9, 0x3f1, v7
	v_or_b32_e32 v5, 0x1000, v3
	v_med3_i32 v9, v9, 0, 13
	v_lshrrev_b32_e32 v10, v9, v5
	v_lshlrev_b32_e32 v9, v9, v10
	v_mul_f16_sdwa v6, v98, v6 dst_sel:DWORD dst_unused:UNUSED_PAD src0_sel:WORD_1 src1_sel:DWORD
	v_cmp_ne_u32_e32 vcc, v9, v5
	v_fma_f16 v6, v98, v11, -v6
	v_cndmask_b32_e64 v5, 0, 1, vcc
	v_add_u32_e32 v7, 0xfffffc10, v7
	v_cvt_f32_f16_e32 v6, v6
	v_or_b32_e32 v5, v10, v5
	v_lshl_or_b32 v9, v7, 12, v3
	v_cmp_gt_i32_e32 vcc, 1, v7
	v_cndmask_b32_e32 v5, v9, v5, vcc
	v_and_b32_e32 v9, 7, v5
	v_cmp_lt_i32_e32 vcc, 5, v9
	v_cmp_eq_u32_e64 s[0:1], 3, v9
	v_lshrrev_b32_e32 v9, 2, v5
	v_cvt_f64_f32_e32 v[5:6], v6
	s_or_b64 vcc, s[0:1], vcc
	v_addc_co_u32_e32 v9, vcc, 0, v9, vcc
	v_mul_f64 v[5:6], v[5:6], s[2:3]
	v_cmp_gt_i32_e32 vcc, 31, v7
	v_cndmask_b32_e32 v9, v0, v9, vcc
	v_cmp_ne_u32_e32 vcc, 0, v3
	v_cndmask_b32_e64 v3, 0, 1, vcc
	v_lshl_or_b32 v3, v3, 9, v0
	v_cmp_eq_u32_e32 vcc, s10, v7
	v_cndmask_b32_e32 v3, v9, v3, vcc
	v_lshrrev_b32_e32 v4, 16, v4
	v_and_or_b32 v7, v4, s11, v3
	v_and_or_b32 v3, v6, s6, v5
	v_cmp_ne_u32_e32 vcc, 0, v3
	v_cndmask_b32_e64 v3, 0, 1, vcc
	v_lshrrev_b32_e32 v4, 8, v6
	v_bfe_u32 v5, v6, 20, 11
	v_and_or_b32 v3, v4, s7, v3
	v_sub_u32_e32 v9, 0x3f1, v5
	v_or_b32_e32 v4, 0x1000, v3
	v_med3_i32 v9, v9, 0, 13
	v_lshrrev_b32_e32 v10, v9, v4
	v_lshlrev_b32_e32 v9, v9, v10
	v_cmp_ne_u32_e32 vcc, v9, v4
	v_cndmask_b32_e64 v4, 0, 1, vcc
	v_add_u32_e32 v5, 0xfffffc10, v5
	v_or_b32_e32 v4, v10, v4
	v_lshl_or_b32 v9, v5, 12, v3
	v_cmp_gt_i32_e32 vcc, 1, v5
	v_cndmask_b32_e32 v4, v9, v4, vcc
	v_and_b32_e32 v9, 7, v4
	v_cmp_lt_i32_e32 vcc, 5, v9
	v_cmp_eq_u32_e64 s[0:1], 3, v9
	v_lshrrev_b32_e32 v9, 16, v8
	v_lshrrev_b32_e32 v4, 2, v4
	s_or_b64 vcc, s[0:1], vcc
	v_mul_f16_sdwa v10, v101, v9 dst_sel:DWORD dst_unused:UNUSED_PAD src0_sel:WORD_1 src1_sel:DWORD
	v_addc_co_u32_e32 v4, vcc, 0, v4, vcc
	v_fma_f16 v10, v101, v8, v10
	v_cmp_gt_i32_e32 vcc, 31, v5
	v_cvt_f32_f16_e32 v10, v10
	v_cndmask_b32_e32 v4, v0, v4, vcc
	v_cmp_ne_u32_e32 vcc, 0, v3
	v_cndmask_b32_e64 v3, 0, 1, vcc
	v_lshl_or_b32 v3, v3, 9, v0
	v_cmp_eq_u32_e32 vcc, s10, v5
	v_cndmask_b32_e32 v5, v4, v3, vcc
	v_cvt_f64_f32_e32 v[3:4], v10
	v_lshrrev_b32_e32 v6, 16, v6
	v_and_or_b32 v5, v6, s11, v5
	v_and_b32_e32 v6, 0xffff, v7
	v_mul_f64 v[3:4], v[3:4], s[2:3]
	v_lshl_or_b32 v5, v5, 16, v6
	v_mov_b32_e32 v6, s4
	v_add_co_u32_e32 v1, vcc, s5, v1
	v_addc_co_u32_e32 v2, vcc, v2, v6, vcc
	global_store_dword v[1:2], v5, off
	v_and_or_b32 v3, v4, s6, v3
	v_cmp_ne_u32_e32 vcc, 0, v3
	v_cndmask_b32_e64 v3, 0, 1, vcc
	v_lshrrev_b32_e32 v5, 8, v4
	v_bfe_u32 v6, v4, 20, 11
	v_and_or_b32 v3, v5, s7, v3
	v_sub_u32_e32 v7, 0x3f1, v6
	v_or_b32_e32 v5, 0x1000, v3
	v_med3_i32 v7, v7, 0, 13
	v_lshrrev_b32_e32 v10, v7, v5
	v_lshlrev_b32_e32 v7, v7, v10
	v_mul_f16_sdwa v8, v101, v8 dst_sel:DWORD dst_unused:UNUSED_PAD src0_sel:WORD_1 src1_sel:DWORD
	v_cmp_ne_u32_e32 vcc, v7, v5
	v_fma_f16 v8, v101, v9, -v8
	v_cndmask_b32_e64 v5, 0, 1, vcc
	v_add_u32_e32 v7, 0xfffffc10, v6
	v_cvt_f32_f16_e32 v8, v8
	v_or_b32_e32 v5, v10, v5
	v_lshl_or_b32 v6, v7, 12, v3
	v_cmp_gt_i32_e32 vcc, 1, v7
	v_cndmask_b32_e32 v5, v6, v5, vcc
	v_and_b32_e32 v6, 7, v5
	v_cmp_lt_i32_e32 vcc, 5, v6
	v_cmp_eq_u32_e64 s[0:1], 3, v6
	v_lshrrev_b32_e32 v9, 2, v5
	v_cvt_f64_f32_e32 v[5:6], v8
	s_or_b64 vcc, s[0:1], vcc
	v_addc_co_u32_e32 v8, vcc, 0, v9, vcc
	v_mul_f64 v[5:6], v[5:6], s[2:3]
	v_cmp_gt_i32_e32 vcc, 31, v7
	v_cndmask_b32_e32 v8, v0, v8, vcc
	v_cmp_ne_u32_e32 vcc, 0, v3
	v_cndmask_b32_e64 v3, 0, 1, vcc
	v_lshl_or_b32 v3, v3, 9, v0
	v_cmp_eq_u32_e32 vcc, s10, v7
	v_cndmask_b32_e32 v3, v8, v3, vcc
	v_lshrrev_b32_e32 v4, 16, v4
	v_and_or_b32 v9, v4, s11, v3
	v_and_or_b32 v3, v6, s6, v5
	v_cmp_ne_u32_e32 vcc, 0, v3
	v_cndmask_b32_e64 v3, 0, 1, vcc
	v_lshrrev_b32_e32 v4, 8, v6
	v_and_or_b32 v5, v4, s7, v3
	v_bfe_u32 v4, v6, 20, 11
	v_sub_u32_e32 v7, 0x3f1, v4
	v_or_b32_e32 v3, 0x1000, v5
	v_med3_i32 v7, v7, 0, 13
	v_lshrrev_b32_e32 v8, v7, v3
	v_lshlrev_b32_e32 v7, v7, v8
	v_cmp_ne_u32_e32 vcc, v7, v3
	v_cndmask_b32_e64 v3, 0, 1, vcc
	v_add_u32_e32 v7, 0xfffffc10, v4
	v_or_b32_e32 v3, v8, v3
	v_lshl_or_b32 v4, v7, 12, v5
	v_cmp_gt_i32_e32 vcc, 1, v7
	v_cndmask_b32_e32 v3, v4, v3, vcc
	v_and_b32_e32 v4, 7, v3
	v_cmp_lt_i32_e32 vcc, 5, v4
	v_cmp_eq_u32_e64 s[0:1], 3, v4
	v_lshrrev_b32_e32 v3, 2, v3
	s_or_b64 vcc, s[0:1], vcc
	v_addc_co_u32_e32 v8, vcc, 0, v3, vcc
	ds_read2_b32 v[3:4], v102 offset0:96 offset1:204
	v_cmp_gt_i32_e32 vcc, 31, v7
	v_cndmask_b32_e32 v8, v0, v8, vcc
	v_cmp_ne_u32_e32 vcc, 0, v5
	v_cndmask_b32_e64 v5, 0, 1, vcc
	s_waitcnt lgkmcnt(0)
	v_lshrrev_b32_e32 v10, 16, v3
	v_mul_f16_sdwa v11, v99, v10 dst_sel:DWORD dst_unused:UNUSED_PAD src0_sel:WORD_1 src1_sel:DWORD
	v_fma_f16 v11, v99, v3, v11
	v_cvt_f32_f16_e32 v11, v11
	v_lshl_or_b32 v5, v5, 9, v0
	v_cmp_eq_u32_e32 vcc, s10, v7
	v_cndmask_b32_e32 v5, v8, v5, vcc
	v_cvt_f64_f32_e32 v[7:8], v11
	v_lshrrev_b32_e32 v6, 16, v6
	v_and_or_b32 v11, v6, s11, v5
	v_add_co_u32_e32 v1, vcc, s5, v1
	v_mul_f64 v[5:6], v[7:8], s[2:3]
	v_mov_b32_e32 v8, s4
	v_and_b32_e32 v9, 0xffff, v9
	v_addc_co_u32_e32 v2, vcc, v2, v8, vcc
	v_lshl_or_b32 v7, v11, 16, v9
	global_store_dword v[1:2], v7, off
	v_mul_f16_sdwa v3, v99, v3 dst_sel:DWORD dst_unused:UNUSED_PAD src0_sel:WORD_1 src1_sel:DWORD
	v_and_or_b32 v5, v6, s6, v5
	v_cmp_ne_u32_e32 vcc, 0, v5
	v_cndmask_b32_e64 v5, 0, 1, vcc
	v_lshrrev_b32_e32 v7, 8, v6
	v_bfe_u32 v8, v6, 20, 11
	v_and_or_b32 v5, v7, s7, v5
	v_sub_u32_e32 v9, 0x3f1, v8
	v_or_b32_e32 v7, 0x1000, v5
	v_med3_i32 v9, v9, 0, 13
	v_lshrrev_b32_e32 v11, v9, v7
	v_lshlrev_b32_e32 v9, v9, v11
	v_cmp_ne_u32_e32 vcc, v9, v7
	v_fma_f16 v3, v99, v10, -v3
	v_cndmask_b32_e64 v7, 0, 1, vcc
	v_add_u32_e32 v9, 0xfffffc10, v8
	v_cvt_f32_f16_e32 v3, v3
	v_or_b32_e32 v7, v11, v7
	v_lshl_or_b32 v8, v9, 12, v5
	v_cmp_gt_i32_e32 vcc, 1, v9
	v_cndmask_b32_e32 v7, v8, v7, vcc
	v_and_b32_e32 v8, 7, v7
	v_cmp_lt_i32_e32 vcc, 5, v8
	v_cmp_eq_u32_e64 s[0:1], 3, v8
	v_lshrrev_b32_e32 v10, 2, v7
	v_cvt_f64_f32_e32 v[7:8], v3
	s_or_b64 vcc, s[0:1], vcc
	v_addc_co_u32_e32 v3, vcc, 0, v10, vcc
	v_mul_f64 v[7:8], v[7:8], s[2:3]
	v_cmp_gt_i32_e32 vcc, 31, v9
	v_cndmask_b32_e32 v3, v0, v3, vcc
	v_cmp_ne_u32_e32 vcc, 0, v5
	v_cndmask_b32_e64 v5, 0, 1, vcc
	v_lshl_or_b32 v5, v5, 9, v0
	v_cmp_eq_u32_e32 vcc, s10, v9
	v_cndmask_b32_e32 v3, v3, v5, vcc
	v_lshrrev_b32_e32 v5, 16, v6
	v_and_or_b32 v3, v5, s11, v3
	v_and_or_b32 v5, v8, s6, v7
	v_cmp_ne_u32_e32 vcc, 0, v5
	v_cndmask_b32_e64 v5, 0, 1, vcc
	v_lshrrev_b32_e32 v6, 8, v8
	v_and_or_b32 v7, v6, s7, v5
	v_bfe_u32 v6, v8, 20, 11
	v_sub_u32_e32 v9, 0x3f1, v6
	v_or_b32_e32 v5, 0x1000, v7
	v_med3_i32 v9, v9, 0, 13
	v_lshrrev_b32_e32 v10, v9, v5
	v_lshlrev_b32_e32 v9, v9, v10
	v_cmp_ne_u32_e32 vcc, v9, v5
	v_cndmask_b32_e64 v5, 0, 1, vcc
	v_add_u32_e32 v9, 0xfffffc10, v6
	v_or_b32_e32 v5, v10, v5
	v_lshl_or_b32 v6, v9, 12, v7
	v_cmp_gt_i32_e32 vcc, 1, v9
	v_cndmask_b32_e32 v5, v6, v5, vcc
	v_and_b32_e32 v6, 7, v5
	v_cmp_lt_i32_e32 vcc, 5, v6
	v_cmp_eq_u32_e64 s[0:1], 3, v6
	v_lshrrev_b32_e32 v5, 2, v5
	s_or_b64 vcc, s[0:1], vcc
	v_addc_co_u32_e32 v10, vcc, 0, v5, vcc
	ds_read2_b32 v[5:6], v106 offset0:24 offset1:132
	v_cmp_gt_i32_e32 vcc, 31, v9
	v_cndmask_b32_e32 v10, v0, v10, vcc
	v_cmp_ne_u32_e32 vcc, 0, v7
	v_cndmask_b32_e64 v7, 0, 1, vcc
	s_waitcnt lgkmcnt(0)
	v_lshrrev_b32_e32 v11, 16, v5
	v_mul_f16_sdwa v12, v97, v11 dst_sel:DWORD dst_unused:UNUSED_PAD src0_sel:WORD_1 src1_sel:DWORD
	v_fma_f16 v12, v97, v5, v12
	v_cvt_f32_f16_e32 v12, v12
	v_lshl_or_b32 v7, v7, 9, v0
	v_cmp_eq_u32_e32 vcc, s10, v9
	v_cndmask_b32_e32 v7, v10, v7, vcc
	v_cvt_f64_f32_e32 v[9:10], v12
	v_lshrrev_b32_e32 v8, 16, v8
	v_and_or_b32 v12, v8, s11, v7
	v_and_b32_e32 v3, 0xffff, v3
	v_mul_f64 v[7:8], v[9:10], s[2:3]
	v_mov_b32_e32 v9, s9
	v_add_co_u32_e32 v1, vcc, s8, v1
	v_lshl_or_b32 v3, v12, 16, v3
	v_addc_co_u32_e32 v2, vcc, v2, v9, vcc
	global_store_dword v[1:2], v3, off
	v_and_or_b32 v3, v8, s6, v7
	v_cmp_ne_u32_e32 vcc, 0, v3
	v_cndmask_b32_e64 v3, 0, 1, vcc
	v_lshrrev_b32_e32 v7, 8, v8
	v_bfe_u32 v9, v8, 20, 11
	v_and_or_b32 v3, v7, s7, v3
	v_sub_u32_e32 v10, 0x3f1, v9
	v_or_b32_e32 v7, 0x1000, v3
	v_med3_i32 v10, v10, 0, 13
	v_lshrrev_b32_e32 v12, v10, v7
	v_lshlrev_b32_e32 v10, v10, v12
	v_cmp_ne_u32_e32 vcc, v10, v7
	v_mul_f16_sdwa v5, v97, v5 dst_sel:DWORD dst_unused:UNUSED_PAD src0_sel:WORD_1 src1_sel:DWORD
	v_cndmask_b32_e64 v7, 0, 1, vcc
	v_fma_f16 v5, v97, v11, -v5
	v_or_b32_e32 v7, v12, v7
	v_add_u32_e32 v12, 0xfffffc10, v9
	v_cvt_f32_f16_e32 v5, v5
	v_lshl_or_b32 v9, v12, 12, v3
	v_cmp_gt_i32_e32 vcc, 1, v12
	v_cndmask_b32_e32 v7, v9, v7, vcc
	v_and_b32_e32 v9, 7, v7
	v_cmp_lt_i32_e32 vcc, 5, v9
	v_cmp_eq_u32_e64 s[0:1], 3, v9
	v_cvt_f64_f32_e32 v[9:10], v5
	v_lshrrev_b32_e32 v7, 2, v7
	s_or_b64 vcc, s[0:1], vcc
	v_addc_co_u32_e32 v5, vcc, 0, v7, vcc
	v_mul_f64 v[9:10], v[9:10], s[2:3]
	v_cmp_gt_i32_e32 vcc, 31, v12
	v_cndmask_b32_e32 v5, v0, v5, vcc
	v_cmp_ne_u32_e32 vcc, 0, v3
	v_cndmask_b32_e64 v3, 0, 1, vcc
	v_lshl_or_b32 v3, v3, 9, v0
	v_cmp_eq_u32_e32 vcc, s10, v12
	v_cndmask_b32_e32 v3, v5, v3, vcc
	v_lshrrev_b32_e32 v5, 16, v8
	v_and_or_b32 v3, v5, s11, v3
	v_and_or_b32 v5, v10, s6, v9
	v_cmp_ne_u32_e32 vcc, 0, v5
	v_cndmask_b32_e64 v5, 0, 1, vcc
	v_lshrrev_b32_e32 v7, 8, v10
	v_bfe_u32 v8, v10, 20, 11
	v_and_or_b32 v5, v7, s7, v5
	v_sub_u32_e32 v9, 0x3f1, v8
	v_or_b32_e32 v7, 0x1000, v5
	v_med3_i32 v9, v9, 0, 13
	v_lshrrev_b32_e32 v11, v9, v7
	v_lshlrev_b32_e32 v9, v9, v11
	v_cmp_ne_u32_e32 vcc, v9, v7
	v_cndmask_b32_e64 v7, 0, 1, vcc
	v_add_u32_e32 v9, 0xfffffc10, v8
	v_or_b32_e32 v7, v11, v7
	v_lshl_or_b32 v8, v9, 12, v5
	v_cmp_gt_i32_e32 vcc, 1, v9
	v_cndmask_b32_e32 v7, v8, v7, vcc
	v_and_b32_e32 v8, 7, v7
	v_cmp_lt_i32_e32 vcc, 5, v8
	v_cmp_eq_u32_e64 s[0:1], 3, v8
	v_lshrrev_b32_e32 v7, 2, v7
	s_or_b64 vcc, s[0:1], vcc
	v_addc_co_u32_e32 v11, vcc, 0, v7, vcc
	ds_read2_b32 v[7:8], v104 offset0:80 offset1:188
	v_cmp_gt_i32_e32 vcc, 31, v9
	v_cndmask_b32_e32 v11, v0, v11, vcc
	v_cmp_ne_u32_e32 vcc, 0, v5
	v_cndmask_b32_e64 v5, 0, 1, vcc
	s_waitcnt lgkmcnt(0)
	v_lshrrev_b32_e32 v13, 16, v7
	v_mul_f16_sdwa v12, v96, v13 dst_sel:DWORD dst_unused:UNUSED_PAD src0_sel:WORD_1 src1_sel:DWORD
	v_fma_f16 v12, v96, v7, v12
	v_cvt_f32_f16_e32 v12, v12
	v_lshl_or_b32 v5, v5, 9, v0
	v_cmp_eq_u32_e32 vcc, s10, v9
	v_cndmask_b32_e32 v5, v11, v5, vcc
	v_cvt_f64_f32_e32 v[11:12], v12
	v_lshrrev_b32_e32 v9, 16, v10
	v_and_or_b32 v5, v9, s11, v5
	v_and_b32_e32 v3, 0xffff, v3
	v_mul_f64 v[9:10], v[11:12], s[2:3]
	v_lshl_or_b32 v3, v5, 16, v3
	v_mov_b32_e32 v5, s4
	v_add_co_u32_e32 v1, vcc, s5, v1
	v_addc_co_u32_e32 v2, vcc, v2, v5, vcc
	global_store_dword v[1:2], v3, off
	v_and_or_b32 v3, v10, s6, v9
	v_cmp_ne_u32_e32 vcc, 0, v3
	v_cndmask_b32_e64 v3, 0, 1, vcc
	v_lshrrev_b32_e32 v5, 8, v10
	v_bfe_u32 v9, v10, 20, 11
	v_and_or_b32 v3, v5, s7, v3
	v_sub_u32_e32 v11, 0x3f1, v9
	v_or_b32_e32 v5, 0x1000, v3
	v_med3_i32 v11, v11, 0, 13
	v_lshrrev_b32_e32 v12, v11, v5
	v_lshlrev_b32_e32 v11, v11, v12
	v_mul_f16_sdwa v7, v96, v7 dst_sel:DWORD dst_unused:UNUSED_PAD src0_sel:WORD_1 src1_sel:DWORD
	v_cmp_ne_u32_e32 vcc, v11, v5
	v_fma_f16 v7, v96, v13, -v7
	v_cndmask_b32_e64 v5, 0, 1, vcc
	v_add_u32_e32 v9, 0xfffffc10, v9
	v_cvt_f32_f16_e32 v7, v7
	v_or_b32_e32 v5, v12, v5
	v_lshl_or_b32 v11, v9, 12, v3
	v_cmp_gt_i32_e32 vcc, 1, v9
	v_cndmask_b32_e32 v5, v11, v5, vcc
	v_and_b32_e32 v11, 7, v5
	v_cmp_lt_i32_e32 vcc, 5, v11
	v_cmp_eq_u32_e64 s[0:1], 3, v11
	v_cvt_f64_f32_e32 v[11:12], v7
	v_lshrrev_b32_e32 v5, 2, v5
	s_or_b64 vcc, s[0:1], vcc
	v_addc_co_u32_e32 v5, vcc, 0, v5, vcc
	v_mul_f64 v[11:12], v[11:12], s[2:3]
	v_cmp_gt_i32_e32 vcc, 31, v9
	v_cndmask_b32_e32 v5, v0, v5, vcc
	v_cmp_ne_u32_e32 vcc, 0, v3
	v_cndmask_b32_e64 v3, 0, 1, vcc
	v_lshl_or_b32 v3, v3, 9, v0
	v_cmp_eq_u32_e32 vcc, s10, v9
	v_cndmask_b32_e32 v3, v5, v3, vcc
	v_lshrrev_b32_e32 v5, 16, v10
	v_and_or_b32 v3, v5, s11, v3
	v_and_or_b32 v5, v12, s6, v11
	v_cmp_ne_u32_e32 vcc, 0, v5
	v_cndmask_b32_e64 v5, 0, 1, vcc
	v_lshrrev_b32_e32 v7, 8, v12
	v_bfe_u32 v9, v12, 20, 11
	v_and_or_b32 v5, v7, s7, v5
	v_sub_u32_e32 v10, 0x3f1, v9
	v_or_b32_e32 v7, 0x1000, v5
	v_med3_i32 v10, v10, 0, 13
	v_lshrrev_b32_e32 v11, v10, v7
	v_lshlrev_b32_e32 v10, v10, v11
	v_cmp_ne_u32_e32 vcc, v10, v7
	v_cndmask_b32_e64 v7, 0, 1, vcc
	v_add_u32_e32 v9, 0xfffffc10, v9
	v_or_b32_e32 v7, v11, v7
	v_lshl_or_b32 v10, v9, 12, v5
	v_cmp_gt_i32_e32 vcc, 1, v9
	v_cndmask_b32_e32 v7, v10, v7, vcc
	v_and_b32_e32 v10, 7, v7
	v_lshrrev_b32_e32 v11, 16, v4
	v_cmp_lt_i32_e32 vcc, 5, v10
	v_cmp_eq_u32_e64 s[0:1], 3, v10
	v_mul_f16_sdwa v10, v95, v11 dst_sel:DWORD dst_unused:UNUSED_PAD src0_sel:WORD_1 src1_sel:DWORD
	v_fma_f16 v10, v95, v4, v10
	v_lshrrev_b32_e32 v7, 2, v7
	s_or_b64 vcc, s[0:1], vcc
	v_cvt_f32_f16_e32 v10, v10
	v_addc_co_u32_e32 v7, vcc, 0, v7, vcc
	v_cmp_gt_i32_e32 vcc, 31, v9
	v_cndmask_b32_e32 v7, v0, v7, vcc
	v_cmp_ne_u32_e32 vcc, 0, v5
	v_cndmask_b32_e64 v5, 0, 1, vcc
	v_cmp_eq_u32_e32 vcc, s10, v9
	v_cvt_f64_f32_e32 v[9:10], v10
	v_lshl_or_b32 v5, v5, 9, v0
	v_cndmask_b32_e32 v5, v7, v5, vcc
	v_lshrrev_b32_e32 v7, 16, v12
	v_mul_f64 v[9:10], v[9:10], s[2:3]
	v_and_or_b32 v5, v7, s11, v5
	v_and_b32_e32 v3, 0xffff, v3
	v_lshl_or_b32 v3, v5, 16, v3
	v_mov_b32_e32 v5, s4
	v_add_co_u32_e32 v1, vcc, s5, v1
	v_addc_co_u32_e32 v2, vcc, v2, v5, vcc
	global_store_dword v[1:2], v3, off
	v_and_or_b32 v3, v10, s6, v9
	v_cmp_ne_u32_e32 vcc, 0, v3
	v_cndmask_b32_e64 v3, 0, 1, vcc
	v_lshrrev_b32_e32 v5, 8, v10
	v_bfe_u32 v7, v10, 20, 11
	v_and_or_b32 v5, v5, s7, v3
	v_sub_u32_e32 v9, 0x3f1, v7
	v_or_b32_e32 v3, 0x1000, v5
	v_med3_i32 v9, v9, 0, 13
	v_lshrrev_b32_e32 v12, v9, v3
	v_lshlrev_b32_e32 v9, v9, v12
	v_mul_f16_sdwa v4, v95, v4 dst_sel:DWORD dst_unused:UNUSED_PAD src0_sel:WORD_1 src1_sel:DWORD
	v_cmp_ne_u32_e32 vcc, v9, v3
	v_fma_f16 v4, v95, v11, -v4
	v_cndmask_b32_e64 v3, 0, 1, vcc
	v_add_u32_e32 v7, 0xfffffc10, v7
	v_cvt_f32_f16_e32 v4, v4
	v_or_b32_e32 v3, v12, v3
	v_lshl_or_b32 v9, v7, 12, v5
	v_cmp_gt_i32_e32 vcc, 1, v7
	v_cndmask_b32_e32 v3, v9, v3, vcc
	v_and_b32_e32 v9, 7, v3
	v_cmp_lt_i32_e32 vcc, 5, v9
	v_cmp_eq_u32_e64 s[0:1], 3, v9
	v_lshrrev_b32_e32 v9, 2, v3
	v_cvt_f64_f32_e32 v[3:4], v4
	s_or_b64 vcc, s[0:1], vcc
	v_addc_co_u32_e32 v9, vcc, 0, v9, vcc
	v_mul_f64 v[3:4], v[3:4], s[2:3]
	v_cmp_gt_i32_e32 vcc, 31, v7
	v_cndmask_b32_e32 v9, v0, v9, vcc
	v_cmp_ne_u32_e32 vcc, 0, v5
	v_cndmask_b32_e64 v5, 0, 1, vcc
	v_lshl_or_b32 v5, v5, 9, v0
	v_cmp_eq_u32_e32 vcc, s10, v7
	v_cndmask_b32_e32 v5, v9, v5, vcc
	v_and_or_b32 v3, v4, s6, v3
	v_lshrrev_b32_e32 v7, 16, v10
	v_cmp_ne_u32_e32 vcc, 0, v3
	v_and_or_b32 v5, v7, s11, v5
	v_cndmask_b32_e64 v3, 0, 1, vcc
	v_lshrrev_b32_e32 v7, 8, v4
	v_bfe_u32 v9, v4, 20, 11
	v_and_or_b32 v3, v7, s7, v3
	v_sub_u32_e32 v10, 0x3f1, v9
	v_or_b32_e32 v7, 0x1000, v3
	v_med3_i32 v10, v10, 0, 13
	v_lshrrev_b32_e32 v11, v10, v7
	v_lshlrev_b32_e32 v10, v10, v11
	v_cmp_ne_u32_e32 vcc, v10, v7
	v_cndmask_b32_e64 v7, 0, 1, vcc
	v_add_u32_e32 v9, 0xfffffc10, v9
	v_or_b32_e32 v7, v11, v7
	v_lshl_or_b32 v10, v9, 12, v3
	v_cmp_gt_i32_e32 vcc, 1, v9
	v_cndmask_b32_e32 v7, v10, v7, vcc
	v_and_b32_e32 v10, 7, v7
	v_lshrrev_b32_e32 v11, 16, v6
	v_cmp_lt_i32_e32 vcc, 5, v10
	v_cmp_eq_u32_e64 s[0:1], 3, v10
	v_mul_f16_sdwa v10, v93, v11 dst_sel:DWORD dst_unused:UNUSED_PAD src0_sel:WORD_1 src1_sel:DWORD
	v_fma_f16 v10, v93, v6, v10
	v_lshrrev_b32_e32 v7, 2, v7
	s_or_b64 vcc, s[0:1], vcc
	v_cvt_f32_f16_e32 v10, v10
	v_addc_co_u32_e32 v7, vcc, 0, v7, vcc
	v_cmp_gt_i32_e32 vcc, 31, v9
	v_cndmask_b32_e32 v7, v0, v7, vcc
	v_cmp_ne_u32_e32 vcc, 0, v3
	v_cndmask_b32_e64 v3, 0, 1, vcc
	v_cmp_eq_u32_e32 vcc, s10, v9
	v_cvt_f64_f32_e32 v[9:10], v10
	v_lshl_or_b32 v3, v3, 9, v0
	v_cndmask_b32_e32 v3, v7, v3, vcc
	v_lshrrev_b32_e32 v4, 16, v4
	v_and_or_b32 v7, v4, s11, v3
	v_mul_f64 v[3:4], v[9:10], s[2:3]
	v_and_b32_e32 v5, 0xffff, v5
	v_lshl_or_b32 v5, v7, 16, v5
	v_mov_b32_e32 v7, s9
	v_add_co_u32_e32 v1, vcc, s8, v1
	v_addc_co_u32_e32 v2, vcc, v2, v7, vcc
	v_and_or_b32 v3, v4, s6, v3
	v_cmp_ne_u32_e32 vcc, 0, v3
	global_store_dword v[1:2], v5, off
	v_cndmask_b32_e64 v3, 0, 1, vcc
	v_lshrrev_b32_e32 v5, 8, v4
	v_bfe_u32 v7, v4, 20, 11
	v_and_or_b32 v3, v5, s7, v3
	v_sub_u32_e32 v9, 0x3f1, v7
	v_or_b32_e32 v5, 0x1000, v3
	v_med3_i32 v9, v9, 0, 13
	v_lshrrev_b32_e32 v10, v9, v5
	v_lshlrev_b32_e32 v9, v9, v10
	v_mul_f16_sdwa v6, v93, v6 dst_sel:DWORD dst_unused:UNUSED_PAD src0_sel:WORD_1 src1_sel:DWORD
	v_cmp_ne_u32_e32 vcc, v9, v5
	v_fma_f16 v6, v93, v11, -v6
	v_cndmask_b32_e64 v5, 0, 1, vcc
	v_add_u32_e32 v7, 0xfffffc10, v7
	v_cvt_f32_f16_e32 v6, v6
	v_or_b32_e32 v5, v10, v5
	v_lshl_or_b32 v9, v7, 12, v3
	v_cmp_gt_i32_e32 vcc, 1, v7
	v_cndmask_b32_e32 v5, v9, v5, vcc
	v_and_b32_e32 v9, 7, v5
	v_cmp_lt_i32_e32 vcc, 5, v9
	v_cmp_eq_u32_e64 s[0:1], 3, v9
	v_lshrrev_b32_e32 v9, 2, v5
	v_cvt_f64_f32_e32 v[5:6], v6
	s_or_b64 vcc, s[0:1], vcc
	v_addc_co_u32_e32 v9, vcc, 0, v9, vcc
	v_mul_f64 v[5:6], v[5:6], s[2:3]
	v_cmp_gt_i32_e32 vcc, 31, v7
	v_cndmask_b32_e32 v9, v0, v9, vcc
	v_cmp_ne_u32_e32 vcc, 0, v3
	v_cndmask_b32_e64 v3, 0, 1, vcc
	v_lshl_or_b32 v3, v3, 9, v0
	v_cmp_eq_u32_e32 vcc, s10, v7
	v_cndmask_b32_e32 v3, v9, v3, vcc
	v_lshrrev_b32_e32 v4, 16, v4
	v_and_or_b32 v7, v4, s11, v3
	v_and_or_b32 v3, v6, s6, v5
	v_cmp_ne_u32_e32 vcc, 0, v3
	v_cndmask_b32_e64 v3, 0, 1, vcc
	v_lshrrev_b32_e32 v4, 8, v6
	v_bfe_u32 v5, v6, 20, 11
	v_and_or_b32 v3, v4, s7, v3
	v_sub_u32_e32 v9, 0x3f1, v5
	v_or_b32_e32 v4, 0x1000, v3
	v_med3_i32 v9, v9, 0, 13
	v_lshrrev_b32_e32 v10, v9, v4
	v_lshlrev_b32_e32 v9, v9, v10
	v_cmp_ne_u32_e32 vcc, v9, v4
	v_cndmask_b32_e64 v4, 0, 1, vcc
	v_add_u32_e32 v5, 0xfffffc10, v5
	v_or_b32_e32 v4, v10, v4
	v_lshl_or_b32 v9, v5, 12, v3
	v_cmp_gt_i32_e32 vcc, 1, v5
	v_cndmask_b32_e32 v4, v9, v4, vcc
	v_and_b32_e32 v9, 7, v4
	v_cmp_lt_i32_e32 vcc, 5, v9
	v_cmp_eq_u32_e64 s[0:1], 3, v9
	v_lshrrev_b32_e32 v9, 16, v8
	v_lshrrev_b32_e32 v4, 2, v4
	s_or_b64 vcc, s[0:1], vcc
	v_mul_f16_sdwa v10, v94, v9 dst_sel:DWORD dst_unused:UNUSED_PAD src0_sel:WORD_1 src1_sel:DWORD
	v_addc_co_u32_e32 v4, vcc, 0, v4, vcc
	v_fma_f16 v10, v94, v8, v10
	v_cmp_gt_i32_e32 vcc, 31, v5
	v_cvt_f32_f16_e32 v10, v10
	v_cndmask_b32_e32 v4, v0, v4, vcc
	v_cmp_ne_u32_e32 vcc, 0, v3
	v_cndmask_b32_e64 v3, 0, 1, vcc
	v_lshl_or_b32 v3, v3, 9, v0
	v_cmp_eq_u32_e32 vcc, s10, v5
	v_cndmask_b32_e32 v5, v4, v3, vcc
	v_cvt_f64_f32_e32 v[3:4], v10
	v_lshrrev_b32_e32 v6, 16, v6
	v_and_or_b32 v5, v6, s11, v5
	v_and_b32_e32 v6, 0xffff, v7
	v_mul_f64 v[3:4], v[3:4], s[2:3]
	v_lshl_or_b32 v5, v5, 16, v6
	v_mov_b32_e32 v6, s4
	v_add_co_u32_e32 v1, vcc, s5, v1
	v_addc_co_u32_e32 v2, vcc, v2, v6, vcc
	global_store_dword v[1:2], v5, off
	v_and_or_b32 v3, v4, s6, v3
	v_cmp_ne_u32_e32 vcc, 0, v3
	v_cndmask_b32_e64 v3, 0, 1, vcc
	v_lshrrev_b32_e32 v5, 8, v4
	v_bfe_u32 v6, v4, 20, 11
	v_and_or_b32 v3, v5, s7, v3
	v_sub_u32_e32 v7, 0x3f1, v6
	v_or_b32_e32 v5, 0x1000, v3
	v_med3_i32 v7, v7, 0, 13
	v_lshrrev_b32_e32 v10, v7, v5
	v_lshlrev_b32_e32 v7, v7, v10
	v_mul_f16_sdwa v8, v94, v8 dst_sel:DWORD dst_unused:UNUSED_PAD src0_sel:WORD_1 src1_sel:DWORD
	v_cmp_ne_u32_e32 vcc, v7, v5
	v_fma_f16 v8, v94, v9, -v8
	v_cndmask_b32_e64 v5, 0, 1, vcc
	v_add_u32_e32 v7, 0xfffffc10, v6
	v_cvt_f32_f16_e32 v8, v8
	v_or_b32_e32 v5, v10, v5
	v_lshl_or_b32 v6, v7, 12, v3
	v_cmp_gt_i32_e32 vcc, 1, v7
	v_cndmask_b32_e32 v5, v6, v5, vcc
	v_and_b32_e32 v6, 7, v5
	v_cmp_lt_i32_e32 vcc, 5, v6
	v_cmp_eq_u32_e64 s[0:1], 3, v6
	v_lshrrev_b32_e32 v9, 2, v5
	v_cvt_f64_f32_e32 v[5:6], v8
	s_or_b64 vcc, s[0:1], vcc
	v_addc_co_u32_e32 v8, vcc, 0, v9, vcc
	v_mul_f64 v[5:6], v[5:6], s[2:3]
	v_cmp_gt_i32_e32 vcc, 31, v7
	v_cndmask_b32_e32 v8, v0, v8, vcc
	v_cmp_ne_u32_e32 vcc, 0, v3
	v_cndmask_b32_e64 v3, 0, 1, vcc
	v_lshl_or_b32 v3, v3, 9, v0
	v_cmp_eq_u32_e32 vcc, s10, v7
	v_cndmask_b32_e32 v3, v8, v3, vcc
	v_lshrrev_b32_e32 v4, 16, v4
	v_and_or_b32 v3, v4, s11, v3
	v_and_or_b32 v4, v6, s6, v5
	v_cmp_ne_u32_e32 vcc, 0, v4
	v_cndmask_b32_e64 v4, 0, 1, vcc
	v_lshrrev_b32_e32 v5, 8, v6
	v_bfe_u32 v7, v6, 20, 11
	v_and_or_b32 v4, v5, s7, v4
	v_sub_u32_e32 v8, 0x3f1, v7
	v_or_b32_e32 v5, 0x1000, v4
	v_med3_i32 v8, v8, 0, 13
	v_lshrrev_b32_e32 v9, v8, v5
	v_lshlrev_b32_e32 v8, v8, v9
	v_cmp_ne_u32_e32 vcc, v8, v5
	v_cndmask_b32_e64 v5, 0, 1, vcc
	v_add_u32_e32 v7, 0xfffffc10, v7
	v_or_b32_e32 v5, v9, v5
	v_lshl_or_b32 v8, v7, 12, v4
	v_cmp_gt_i32_e32 vcc, 1, v7
	v_cndmask_b32_e32 v5, v8, v5, vcc
	v_and_b32_e32 v8, 7, v5
	v_cmp_lt_i32_e32 vcc, 5, v8
	v_cmp_eq_u32_e64 s[0:1], 3, v8
	v_lshrrev_b32_e32 v5, 2, v5
	s_or_b64 vcc, s[0:1], vcc
	v_addc_co_u32_e32 v5, vcc, 0, v5, vcc
	v_cmp_gt_i32_e32 vcc, 31, v7
	v_cndmask_b32_e32 v5, v0, v5, vcc
	v_cmp_ne_u32_e32 vcc, 0, v4
	v_cndmask_b32_e64 v4, 0, 1, vcc
	v_lshl_or_b32 v0, v4, 9, v0
	v_cmp_eq_u32_e32 vcc, s10, v7
	v_cndmask_b32_e32 v0, v5, v0, vcc
	v_lshrrev_b32_e32 v4, 16, v6
	v_and_or_b32 v0, v4, s11, v0
	v_and_b32_e32 v3, 0xffff, v3
	v_lshl_or_b32 v3, v0, 16, v3
	v_mov_b32_e32 v4, s4
	v_add_co_u32_e32 v0, vcc, s5, v1
	v_addc_co_u32_e32 v1, vcc, v2, v4, vcc
	global_store_dword v[0:1], v3, off
.LBB0_2:
	s_endpgm
	.section	.rodata,"a",@progbits
	.p2align	6, 0x0
	.amdhsa_kernel bluestein_single_fwd_len3240_dim1_half_op_CI_CI
		.amdhsa_group_segment_fixed_size 12960
		.amdhsa_private_segment_fixed_size 0
		.amdhsa_kernarg_size 104
		.amdhsa_user_sgpr_count 6
		.amdhsa_user_sgpr_private_segment_buffer 1
		.amdhsa_user_sgpr_dispatch_ptr 0
		.amdhsa_user_sgpr_queue_ptr 0
		.amdhsa_user_sgpr_kernarg_segment_ptr 1
		.amdhsa_user_sgpr_dispatch_id 0
		.amdhsa_user_sgpr_flat_scratch_init 0
		.amdhsa_user_sgpr_private_segment_size 0
		.amdhsa_uses_dynamic_stack 0
		.amdhsa_system_sgpr_private_segment_wavefront_offset 0
		.amdhsa_system_sgpr_workgroup_id_x 1
		.amdhsa_system_sgpr_workgroup_id_y 0
		.amdhsa_system_sgpr_workgroup_id_z 0
		.amdhsa_system_sgpr_workgroup_info 0
		.amdhsa_system_vgpr_workitem_id 0
		.amdhsa_next_free_vgpr 236
		.amdhsa_next_free_sgpr 20
		.amdhsa_reserve_vcc 1
		.amdhsa_reserve_flat_scratch 0
		.amdhsa_float_round_mode_32 0
		.amdhsa_float_round_mode_16_64 0
		.amdhsa_float_denorm_mode_32 3
		.amdhsa_float_denorm_mode_16_64 3
		.amdhsa_dx10_clamp 1
		.amdhsa_ieee_mode 1
		.amdhsa_fp16_overflow 0
		.amdhsa_exception_fp_ieee_invalid_op 0
		.amdhsa_exception_fp_denorm_src 0
		.amdhsa_exception_fp_ieee_div_zero 0
		.amdhsa_exception_fp_ieee_overflow 0
		.amdhsa_exception_fp_ieee_underflow 0
		.amdhsa_exception_fp_ieee_inexact 0
		.amdhsa_exception_int_div_zero 0
	.end_amdhsa_kernel
	.text
.Lfunc_end0:
	.size	bluestein_single_fwd_len3240_dim1_half_op_CI_CI, .Lfunc_end0-bluestein_single_fwd_len3240_dim1_half_op_CI_CI
                                        ; -- End function
	.section	.AMDGPU.csdata,"",@progbits
; Kernel info:
; codeLenInByte = 47732
; NumSgprs: 24
; NumVgprs: 236
; ScratchSize: 0
; MemoryBound: 0
; FloatMode: 240
; IeeeMode: 1
; LDSByteSize: 12960 bytes/workgroup (compile time only)
; SGPRBlocks: 2
; VGPRBlocks: 58
; NumSGPRsForWavesPerEU: 24
; NumVGPRsForWavesPerEU: 236
; Occupancy: 1
; WaveLimiterHint : 1
; COMPUTE_PGM_RSRC2:SCRATCH_EN: 0
; COMPUTE_PGM_RSRC2:USER_SGPR: 6
; COMPUTE_PGM_RSRC2:TRAP_HANDLER: 0
; COMPUTE_PGM_RSRC2:TGID_X_EN: 1
; COMPUTE_PGM_RSRC2:TGID_Y_EN: 0
; COMPUTE_PGM_RSRC2:TGID_Z_EN: 0
; COMPUTE_PGM_RSRC2:TIDIG_COMP_CNT: 0
	.type	__hip_cuid_4dbee8e7d83cc14c,@object ; @__hip_cuid_4dbee8e7d83cc14c
	.section	.bss,"aw",@nobits
	.globl	__hip_cuid_4dbee8e7d83cc14c
__hip_cuid_4dbee8e7d83cc14c:
	.byte	0                               ; 0x0
	.size	__hip_cuid_4dbee8e7d83cc14c, 1

	.ident	"AMD clang version 19.0.0git (https://github.com/RadeonOpenCompute/llvm-project roc-6.4.0 25133 c7fe45cf4b819c5991fe208aaa96edf142730f1d)"
	.section	".note.GNU-stack","",@progbits
	.addrsig
	.addrsig_sym __hip_cuid_4dbee8e7d83cc14c
	.amdgpu_metadata
---
amdhsa.kernels:
  - .args:
      - .actual_access:  read_only
        .address_space:  global
        .offset:         0
        .size:           8
        .value_kind:     global_buffer
      - .actual_access:  read_only
        .address_space:  global
        .offset:         8
        .size:           8
        .value_kind:     global_buffer
      - .actual_access:  read_only
        .address_space:  global
        .offset:         16
        .size:           8
        .value_kind:     global_buffer
      - .actual_access:  read_only
        .address_space:  global
        .offset:         24
        .size:           8
        .value_kind:     global_buffer
      - .actual_access:  read_only
        .address_space:  global
        .offset:         32
        .size:           8
        .value_kind:     global_buffer
      - .offset:         40
        .size:           8
        .value_kind:     by_value
      - .address_space:  global
        .offset:         48
        .size:           8
        .value_kind:     global_buffer
      - .address_space:  global
        .offset:         56
        .size:           8
        .value_kind:     global_buffer
      - .address_space:  global
        .offset:         64
        .size:           8
        .value_kind:     global_buffer
      - .address_space:  global
        .offset:         72
        .size:           8
        .value_kind:     global_buffer
      - .offset:         80
        .size:           4
        .value_kind:     by_value
      - .address_space:  global
        .offset:         88
        .size:           8
        .value_kind:     global_buffer
      - .address_space:  global
        .offset:         96
        .size:           8
        .value_kind:     global_buffer
    .group_segment_fixed_size: 12960
    .kernarg_segment_align: 8
    .kernarg_segment_size: 104
    .language:       OpenCL C
    .language_version:
      - 2
      - 0
    .max_flat_workgroup_size: 108
    .name:           bluestein_single_fwd_len3240_dim1_half_op_CI_CI
    .private_segment_fixed_size: 0
    .sgpr_count:     24
    .sgpr_spill_count: 0
    .symbol:         bluestein_single_fwd_len3240_dim1_half_op_CI_CI.kd
    .uniform_work_group_size: 1
    .uses_dynamic_stack: false
    .vgpr_count:     236
    .vgpr_spill_count: 0
    .wavefront_size: 64
amdhsa.target:   amdgcn-amd-amdhsa--gfx906
amdhsa.version:
  - 1
  - 2
...

	.end_amdgpu_metadata
